;; amdgpu-corpus repo=ROCm/aiter kind=harvested arch=n/a opt=n/a

/root/src/amdgpu-assembly/repos/ROCm__aiter/hsa/gfx942/fmoe/gelu/fmoe_fp8_g1u1_subGU_128_gelu.co:	file format elf64-amdgpu

Disassembly of section .text:

0000000000002b00 <fmoe_fp8_g1u1_subGU_128_gelu>:
	s_and_b32 s1, s1, 0xffff                                   // 000000002B00: 8601FF01 0000FFFF
	s_load_dwordx2 s[8:9], s[0:1], 0x0                         // 000000002B08: C0060200 00000000
	s_load_dwordx2 s[20:21], s[0:1], 0x10                      // 000000002B10: C0060500 00000010
	s_load_dwordx2 s[24:25], s[0:1], 0x20                      // 000000002B18: C0060600 00000020
	s_load_dwordx2 s[50:51], s[0:1], 0x30                      // 000000002B20: C0060C80 00000030
	s_load_dwordx2 s[12:13], s[0:1], 0x40                      // 000000002B28: C0060300 00000040
	s_load_dwordx2 s[28:29], s[0:1], 0x50                      // 000000002B30: C0060700 00000050
	s_load_dwordx2 s[32:33], s[0:1], 0x60                      // 000000002B38: C0060800 00000060
	s_load_dwordx2 s[16:17], s[0:1], 0x70                      // 000000002B40: C0060400 00000070
	s_load_dwordx2 s[36:37], s[0:1], 0x80                      // 000000002B48: C0060900 00000080
	s_load_dwordx2 s[44:45], s[0:1], 0x90                      // 000000002B50: C0060B00 00000090
	s_load_dwordx2 s[40:41], s[0:1], 0xa0                      // 000000002B58: C0060A00 000000A0
	s_load_dwordx2 s[46:47], s[0:1], 0xb0                      // 000000002B60: C0060B80 000000B0
	s_load_dword s64, s[0:1], 0xc0                             // 000000002B68: C0021000 000000C0
	s_load_dword s65, s[0:1], 0xd0                             // 000000002B70: C0021040 000000D0
	s_load_dword s66, s[0:1], 0xe0                             // 000000002B78: C0021080 000000E0
	s_load_dword s67, s[0:1], 0xf0                             // 000000002B80: C00210C0 000000F0
	s_load_dword s68, s[0:1], 0x100                            // 000000002B88: C0021100 00000100
	s_load_dword s69, s[0:1], 0x110                            // 000000002B90: C0021140 00000110
	s_load_dword s70, s[0:1], 0x120                            // 000000002B98: C0021180 00000120
	s_load_dword s71, s[0:1], 0x130                            // 000000002BA0: C00211C0 00000130
	s_load_dword s72, s[0:1], 0x140                            // 000000002BA8: C0021200 00000140
	s_load_dword s73, s[0:1], 0x150                            // 000000002BB0: C0021240 00000150
	s_load_dword s74, s[0:1], 0x160                            // 000000002BB8: C0021280 00000160
	s_load_dword s75, s[0:1], 0x170                            // 000000002BC0: C00212C0 00000170
	s_load_dword s76, s[0:1], 0x180                            // 000000002BC8: C0021300 00000180
	v_lshrrev_b32_e32 v1, 10, v0                               // 000000002BD0: 2002008A
	v_lshrrev_b32_e32 v2, 10, v1                               // 000000002BD4: 2004028A
	v_and_b32_e32 v2, 0x3ff, v2                                // 000000002BD8: 260404FF 000003FF
	v_and_b32_e32 v1, 0x3ff, v1                                // 000000002BE0: 260202FF 000003FF
	v_and_b32_e32 v0, 0x3ff, v0                                // 000000002BE8: 260000FF 000003FF
	v_lshrrev_b32_e32 v3, 6, v0                                // 000000002BF0: 20060086
	v_and_b32_e32 v0, 63, v0                                   // 000000002BF4: 260000BF
	s_mov_b32 s2, s2                                           // 000000002BF8: BE820002
	s_mov_b32 s3, s3                                           // 000000002BFC: BE830003
	s_mov_b32 s4, s4                                           // 000000002C00: BE840004
	v_readfirstlane_b32 s7, v3                                 // 000000002C04: 7E0E0503
	s_waitcnt lgkmcnt(0)                                       // 000000002C08: BF8CC07F
	s_and_b32 s51, s51, 0xffff                                 // 000000002C0C: 8633FF33 0000FFFF
	s_load_dword s50, s[50:51], 0x0                            // 000000002C14: C0020C99 00000000
	s_and_b32 s45, s45, 0xffff                                 // 000000002C1C: 862DFF2D 0000FFFF
	s_and_b32 s47, s47, 0xffff                                 // 000000002C24: 862FFF2F 0000FFFF
	s_and_b32 s9, s9, 0xffff                                   // 000000002C2C: 8609FF09 0000FFFF
	s_mul_i32 s60, s66, s68                                    // 000000002C34: 923C4442
	s_mul_i32 s61, s66, 4                                      // 000000002C38: 923D8442
	s_mov_b32 s22, s60                                         // 000000002C3C: BE96003C
	s_mov_b32 s26, 0x80000000                                  // 000000002C40: BE9A00FF 80000000
	s_mov_b32 s14, 0x80000000                                  // 000000002C48: BE8E00FF 80000000
	s_mov_b32 s42, 0x80000000                                  // 000000002C50: BEAA00FF 80000000
	s_mov_b32 s30, s61                                         // 000000002C58: BE9E003D
	s_mov_b32 s34, 0x200                                       // 000000002C5C: BEA200FF 00000200
	s_mov_b32 s38, 0x200                                       // 000000002C64: BEA600FF 00000200
	s_mov_b32 s18, 0x80000000                                  // 000000002C6C: BE9200FF 80000000
	s_mov_b32 s23, 0x20000                                     // 000000002C74: BE9700FF 00020000
	s_mov_b32 s27, 0x20000                                     // 000000002C7C: BE9B00FF 00020000
	s_mov_b32 s15, 0x20000                                     // 000000002C84: BE8F00FF 00020000
	s_mov_b32 s43, 0x20000                                     // 000000002C8C: BEAB00FF 00020000
	s_mov_b32 s31, 0x20000                                     // 000000002C94: BE9F00FF 00020000
	s_mov_b32 s35, 0x20000                                     // 000000002C9C: BEA300FF 00020000
	s_mov_b32 s39, 0x20000                                     // 000000002CA4: BEA700FF 00020000
	s_mov_b32 s19, 0x20000                                     // 000000002CAC: BE9300FF 00020000
	s_and_b32 s21, s21, 0xffff                                 // 000000002CB4: 8615FF15 0000FFFF
	s_and_b32 s25, s25, 0xffff                                 // 000000002CBC: 8619FF19 0000FFFF
	s_and_b32 s13, s13, 0xffff                                 // 000000002CC4: 860DFF0D 0000FFFF
	s_and_b32 s41, s41, 0xffff                                 // 000000002CCC: 8629FF29 0000FFFF
	s_and_b32 s29, s29, 0xffff                                 // 000000002CD4: 861DFF1D 0000FFFF
	s_and_b32 s33, s33, 0xffff                                 // 000000002CDC: 8621FF21 0000FFFF
	s_and_b32 s37, s37, 0xffff                                 // 000000002CE4: 8625FF25 0000FFFF
	s_and_b32 s17, s17, 0xffff                                 // 000000002CEC: 8611FF11 0000FFFF
	s_or_b32 s21, s21, 0x40000                                 // 000000002CF4: 8715FF15 00040000
	s_or_b32 s25, s25, 0x40000                                 // 000000002CFC: 8719FF19 00040000
	s_or_b32 s13, s13, 0x40000                                 // 000000002D04: 870DFF0D 00040000
	s_or_b32 s41, s41, 0x40000                                 // 000000002D0C: 8729FF29 00040000
	s_or_b32 s29, s29, 0x40000                                 // 000000002D14: 871DFF1D 00040000
	s_or_b32 s33, s33, 0x40000                                 // 000000002D1C: 8721FF21 00040000
	s_or_b32 s37, s37, 0x40000                                 // 000000002D24: 8725FF25 00040000
	s_or_b32 s17, s17, 0x40000                                 // 000000002D2C: 8711FF11 00040000
	v_accvgpr_write_b32 a63, 0                                 // 000000002D34: D3D9403F 18000080
	v_mov_b32_e32 v207, 0                                      // 000000002D3C: 7F9E0280
	s_waitcnt lgkmcnt(0)                                       // 000000002D40: BF8CC07F
	s_mul_i32 s60, s3, 32                                      // 000000002D44: 923CA003
	s_cmp_lt_i32 s60, s50                                      // 000000002D48: BF04323C
	s_cbranch_scc0 label_12D5                                  // 000000002D4C: BF841241
	s_mov_b32 s80, 0                                           // 000000002D50: BED00080
	s_mov_b32 s81, s64                                         // 000000002D54: BED10040
	s_mul_i32 s60, s3, 4                                       // 000000002D58: 923C8403
	s_add_u32 s46, s60, s46                                    // 000000002D5C: 802E2E3C
	s_addc_u32 s47, 0, s47                                     // 000000002D60: 822F2F80
	s_load_dword s5, s[46:47], 0x0                             // 000000002D64: C0020157 00000000
	s_mul_i32 s60, s3, 32                                      // 000000002D6C: 923CA003
	s_mul_i32 s60, 4, s60                                      // 000000002D70: 923C3C84
	v_and_b32_e32 v44, 15, v0                                  // 000000002D74: 2658008F
	v_lshlrev_b32_e32 v44, 2, v44                              // 000000002D78: 24585882
	v_add_u32_e32 v44, s60, v44                                // 000000002D7C: 6858583C
	v_mov_b32_e32 v45, 0                                       // 000000002D80: 7E5A0280
	global_load_dword v6, v44, s[44:45]                        // 000000002D84: DC508000 062C002C
	v_add_u32_e32 v44, 64, v44                                 // 000000002D8C: 685858C0
	global_load_dword v7, v44, s[44:45]                        // 000000002D90: DC508000 072C002C
	s_mul_i32 s60, s3, 32                                      // 000000002D98: 923CA003
	s_add_u32 s60, s7, s60                                     // 000000002D9C: 803C3C07
	s_mul_i32 s60, 4, s60                                      // 000000002DA0: 923C3C84
	s_add_u32 s44, s60, s44                                    // 000000002DA4: 802C2C3C
	s_addc_u32 s45, 0, s45                                     // 000000002DA8: 822D2D80
	s_load_dword s82, s[44:45], 0x0                            // 000000002DAC: C0021496 00000000
	s_load_dword s83, s[44:45], 0x10                           // 000000002DB4: C00214D6 00000010
	s_load_dword s84, s[44:45], 0x20                           // 000000002DBC: C0021516 00000020
	s_load_dword s85, s[44:45], 0x30                           // 000000002DC4: C0021556 00000030
	s_load_dword s86, s[44:45], 0x40                           // 000000002DCC: C0021596 00000040
	s_load_dword s87, s[44:45], 0x50                           // 000000002DD4: C00215D6 00000050
	s_load_dword s88, s[44:45], 0x60                           // 000000002DDC: C0021616 00000060
	s_load_dword s89, s[44:45], 0x70                           // 000000002DE4: C0021656 00000070
	s_waitcnt lgkmcnt(0)                                       // 000000002DEC: BF8CC07F
	v_lshlrev_b32_e32 v44, 2, v0                               // 000000002DF0: 24580082
	s_and_b32 s82, s82, 0xffffff                               // 000000002DF4: 8652FF52 00FFFFFF
	s_mul_i32 s60, s82, s68                                    // 000000002DFC: 923C4452
	v_add_u32_e64 v24, v44, s60                                // 000000002E00: D1340018 0000792C
	s_and_b32 s83, s83, 0xffffff                               // 000000002E08: 8653FF53 00FFFFFF
	s_mul_i32 s60, s83, s68                                    // 000000002E10: 923C4453
	v_add_u32_e64 v25, v44, s60                                // 000000002E14: D1340019 0000792C
	s_and_b32 s84, s84, 0xffffff                               // 000000002E1C: 8654FF54 00FFFFFF
	s_mul_i32 s60, s84, s68                                    // 000000002E24: 923C4454
	v_add_u32_e64 v26, v44, s60                                // 000000002E28: D134001A 0000792C
	s_and_b32 s85, s85, 0xffffff                               // 000000002E30: 8655FF55 00FFFFFF
	s_mul_i32 s60, s85, s68                                    // 000000002E38: 923C4455
	v_add_u32_e64 v27, v44, s60                                // 000000002E3C: D134001B 0000792C
	s_and_b32 s86, s86, 0xffffff                               // 000000002E44: 8656FF56 00FFFFFF
	s_mul_i32 s60, s86, s68                                    // 000000002E4C: 923C4456
	v_add_u32_e64 v28, v44, s60                                // 000000002E50: D134001C 0000792C
	s_and_b32 s87, s87, 0xffffff                               // 000000002E58: 8657FF57 00FFFFFF
	s_mul_i32 s60, s87, s68                                    // 000000002E60: 923C4457
	v_add_u32_e64 v29, v44, s60                                // 000000002E64: D134001D 0000792C
	s_and_b32 s88, s88, 0xffffff                               // 000000002E6C: 8658FF58 00FFFFFF
	s_mul_i32 s60, s88, s68                                    // 000000002E74: 923C4458
	v_add_u32_e64 v30, v44, s60                                // 000000002E78: D134001E 0000792C
	s_and_b32 s89, s89, 0xffffff                               // 000000002E80: 8659FF59 00FFFFFF
	s_mul_i32 s60, s89, s68                                    // 000000002E88: 923C4459
	v_add_u32_e64 v31, v44, s60                                // 000000002E8C: D134001F 0000792C
	v_lshlrev_b32_e32 v44, 2, v0                               // 000000002E94: 24580082
	s_mul_i32 s60, s82, s71                                    // 000000002E98: 923C4752
	v_add_u32_e64 v80, v44, s60                                // 000000002E9C: D1340050 0000792C
	v_mov_b32_e32 v81, 0                                       // 000000002EA4: 7EA20280
	s_mul_i32 s60, s83, s71                                    // 000000002EA8: 923C4753
	v_add_u32_e64 v82, v44, s60                                // 000000002EAC: D1340052 0000792C
	v_mov_b32_e32 v83, 0                                       // 000000002EB4: 7EA60280
	s_mul_i32 s60, s84, s71                                    // 000000002EB8: 923C4754
	v_add_u32_e64 v84, v44, s60                                // 000000002EBC: D1340054 0000792C
	v_mov_b32_e32 v85, 0                                       // 000000002EC4: 7EAA0280
	s_mul_i32 s60, s85, s71                                    // 000000002EC8: 923C4755
	v_add_u32_e64 v86, v44, s60                                // 000000002ECC: D1340056 0000792C
	v_mov_b32_e32 v87, 0                                       // 000000002ED4: 7EAE0280
	s_mul_i32 s60, s86, s71                                    // 000000002ED8: 923C4756
	v_add_u32_e64 v88, v44, s60                                // 000000002EDC: D1340058 0000792C
	v_mov_b32_e32 v89, 0                                       // 000000002EE4: 7EB20280
	s_mul_i32 s60, s87, s71                                    // 000000002EE8: 923C4757
	v_add_u32_e64 v90, v44, s60                                // 000000002EEC: D134005A 0000792C
	v_mov_b32_e32 v91, 0                                       // 000000002EF4: 7EB60280
	s_mul_i32 s60, s88, s71                                    // 000000002EF8: 923C4758
	v_add_u32_e64 v92, v44, s60                                // 000000002EFC: D134005C 0000792C
	v_mov_b32_e32 v93, 0                                       // 000000002F04: 7EBA0280
	s_mul_i32 s60, s89, s71                                    // 000000002F08: 923C4759
	v_add_u32_e64 v94, v44, s60                                // 000000002F0C: D134005E 0000792C
	v_mov_b32_e32 v95, 0                                       // 000000002F14: 7EBE0280
	s_mul_i32 s60, s7, 0x820                                   // 000000002F18: 923CFF07 00000820
	s_add_u32 s50, 0, s60                                      // 000000002F20: 80323C80
	s_add_u32 s51, 0x2080, s50                                 // 000000002F24: 803332FF 00002080
	v_lshrrev_b32_e32 v44, 4, v0                               // 000000002F2C: 20580084
	v_lshlrev_b32_e32 v45, 2, v44                              // 000000002F30: 245A5882
	v_and_b32_e32 v44, 15, v0                                  // 000000002F34: 2658008F
	v_lshrrev_b32_e32 v46, 2, v44                              // 000000002F38: 205C5882
	v_lshlrev_b32_e32 v46, 6, v46                              // 000000002F3C: 245C5C86
	v_add_u32_e32 v45, v46, v45                                // 000000002F40: 685A5B2E
	v_and_b32_e32 v44, 3, v0                                   // 000000002F44: 26580083
	v_mul_i32_i24_e32 v46, 0x208, v44                          // 000000002F48: 0C5C58FF 00000208
	v_add_u32_e32 v45, v46, v45                                // 000000002F50: 685A5B2E
	v_lshlrev_b32_e32 v2, 2, v45                               // 000000002F54: 24045A82
	s_mul_i32 s60, s2, 0x80                                    // 000000002F58: 923CFF02 00000080
	s_mul_i32 s60, s60, s69                                    // 000000002F60: 923C453C
	s_mul_i32 s61, s5, s72                                     // 000000002F64: 923D4805
	s_add_u32 s60, s61, s60                                    // 000000002F68: 803C3C3D
	s_add_u32 s24, s60, s24                                    // 000000002F6C: 8018183C
	s_addc_u32 s25, 0, s25                                     // 000000002F70: 82191980
	s_mul_i32 s60, s7, 16                                      // 000000002F74: 923C9007
	s_mul_i32 s60, s60, s69                                    // 000000002F78: 923C453C
	v_lshlrev_b32_e32 v32, 4, v0                               // 000000002F7C: 24400084
	v_add_u32_e32 v32, s60, v32                                // 000000002F80: 6840403C
	s_mul_i32 s60, 64, s69                                     // 000000002F84: 923C45C0
	v_add_u32_e32 v33, s60, v32                                // 000000002F88: 6842403C
	s_mov_b32 s92, s24                                         // 000000002F8C: BEDC0018
	s_mov_b32 s93, s25                                         // 000000002F90: BEDD0019
	s_mov_b32 s94, s26                                         // 000000002F94: BEDE001A
	s_mov_b32 s95, s27                                         // 000000002F98: BEDF001B
	s_mul_i32 s60, s69, s65                                    // 000000002F9C: 923C4145
	s_add_u32 s92, s60, s92                                    // 000000002FA0: 805C5C3C
	s_addc_u32 s93, 0, s93                                     // 000000002FA4: 825D5D80
	s_mul_i32 s60, s2, 0x800                                   // 000000002FA8: 923CFF02 00000800
	s_mul_i32 s61, s5, s73                                     // 000000002FB0: 923D4905
	s_add_u32 s60, s61, s60                                    // 000000002FB4: 803C3C3D
	s_add_u32 s12, s60, s12                                    // 000000002FB8: 800C0C3C
	s_addc_u32 s13, 0, s13                                     // 000000002FBC: 820D0D80
	s_mul_i32 s60, s7, 16                                      // 000000002FC0: 923C9007
	s_mul_i32 s60, s60, s70                                    // 000000002FC4: 923C463C
	v_lshlrev_b32_e32 v34, 4, v0                               // 000000002FC8: 24440084
	v_add_u32_e32 v34, s60, v34                                // 000000002FCC: 6844443C
	s_mul_i32 s60, 64, s70                                     // 000000002FD0: 923C46C0
	v_add_u32_e32 v35, s60, v34                                // 000000002FD4: 6846443C
	v_add_u32_e32 v36, s60, v35                                // 000000002FD8: 6848463C
	v_add_u32_e32 v37, s60, v36                                // 000000002FDC: 684A483C
	s_mul_i32 s60, s70, 0x100                                  // 000000002FE0: 923CFF46 00000100
	s_mov_b32 s78, 0x400                                       // 000000002FE8: BECE00FF 00000400
	s_mul_i32 s61, s78, 1                                      // 000000002FF0: 923D814E
	s_sub_u32 s56, s60, s61                                    // 000000002FF4: 80B83D3C
	s_mul_i32 s60, s3, 32                                      // 000000002FF8: 923CA003
	s_mul_i32 s60, 4, s60                                      // 000000002FFC: 923C3C84
	s_add_u32 s40, s60, s40                                    // 000000003000: 8028283C
	s_addc_u32 s41, 0, s41                                     // 000000003004: 82292980
	v_and_b32_e32 v44, 15, v0                                  // 000000003008: 2658008F
	v_lshlrev_b32_e32 v8, 2, v44                               // 00000000300C: 24105882
	v_add_u32_e32 v9, 64, v8                                   // 000000003010: 681210C0
	v_lshrrev_b32_e32 v44, 4, v0                               // 000000003014: 20580084
	v_lshlrev_b32_e32 v45, 2, v44                              // 000000003018: 245A5882
	v_and_b32_e32 v44, 15, v0                                  // 00000000301C: 2658008F
	v_lshrrev_b32_e32 v46, 2, v44                              // 000000003020: 205C5882
	v_lshlrev_b32_e32 v46, 6, v46                              // 000000003024: 245C5C86
	v_add_u32_e32 v45, v46, v45                                // 000000003028: 685A5B2E
	v_and_b32_e32 v44, 3, v0                                   // 00000000302C: 26580083
	v_add_u32_e32 v45, v44, v45                                // 000000003030: 685A5B2C
	v_lshlrev_b32_e32 v10, 2, v45                              // 000000003034: 24145A82
	v_add_u32_e32 v11, 0x400, v10                              // 000000003038: 681614FF 00000400
	s_mul_i32 s60, s7, 16                                      // 000000003040: 923C9007
	s_mul_i32 s60, s60, 4                                      // 000000003044: 923C843C
	v_add_u32_e32 v10, s60, v10                                // 000000003048: 6814143C
	v_add_u32_e32 v11, s60, v11                                // 00000000304C: 6816163C
	v_mov_b32_e32 v5, v10                                      // 000000003050: 7E0A030A
	s_mul_i32 s60, s2, 0x80                                    // 000000003054: 923CFF02 00000080
	s_mul_i32 s60, s60, 4                                      // 00000000305C: 923C843C
	s_mul_i32 s61, s5, s74                                     // 000000003060: 923D4A05
	s_add_u32 s61, s61, s60                                    // 000000003064: 803D3C3D
	s_mul_i32 s62, s5, s76                                     // 000000003068: 923E4C05
	s_add_u32 s62, s62, s60                                    // 00000000306C: 803E3C3E
	s_add_u32 s32, s61, s32                                    // 000000003070: 8020203D
	s_addc_u32 s33, 0, s33                                     // 000000003074: 82212180
	s_add_u32 s36, s62, s36                                    // 000000003078: 8024243E
	s_addc_u32 s37, 0, s37                                     // 00000000307C: 82252580
	s_mul_i32 s60, s5, s75                                     // 000000003080: 923C4B05
	s_add_u32 s16, s60, s16                                    // 000000003084: 8010103C
	s_addc_u32 s17, 0, s17                                     // 000000003088: 82111180
	s_mov_b32 s57, 0x100                                       // 00000000308C: BEB900FF 00000100
	s_mov_b32 s58, 0x1000                                      // 000000003094: BEBA00FF 00001000
	s_mov_b32 s79, 0x400                                       // 00000000309C: BECF00FF 00000400
	s_mov_b32 s59, 0x200                                       // 0000000030A4: BEBB00FF 00000200
	s_mov_b32 s90, s58                                         // 0000000030AC: BEDA003A
	s_mov_b32 s52, 0x7060302                                   // 0000000030B0: BEB400FF 07060302
	s_mov_b32 s53, 0x400                                       // 0000000030B8: BEB500FF 00000400
	s_mov_b32 s54, 0x40100                                     // 0000000030C0: BEB600FF 00040100
	s_mov_b32 s55, 0x4020100                                   // 0000000030C8: BEB700FF 04020100
	s_mov_b32 s6, 0x3fb8aa3b                                   // 0000000030D0: BE8600FF 3FB8AA3B
	s_mov_b32 s77, 0xbd92220c                                  // 0000000030D8: BECD00FF BD92220C
	s_mov_b32 m0, s50                                          // 0000000030E0: BEFC0032
	v_mov_b32_e32 v1, 0xbfcc4231                               // 0000000030E4: 7E0202FF BFCC4231
	v_mov_b32_e32 v39, 0xffff0000                              // 0000000030EC: 7E4E02FF FFFF0000
	v_mov_b32_e32 v40, 0x7fff0000                              // 0000000030F4: 7E5002FF 7FFF0000
	v_mov_b32_e32 v41, 0x7fff                                  // 0000000030FC: 7E5202FF 00007FFF
	s_waitcnt vmcnt(0) expcnt(0) lgkmcnt(0)                    // 000000003104: BF8C0000
	v_and_b32_e32 v6, 0xffffff, v6                             // 000000003108: 260C0CFF 00FFFFFF
	v_and_b32_e32 v7, 0xffffff, v7                             // 000000003110: 260E0EFF 00FFFFFF
	v_lshlrev_b32_e32 v6, 2, v6                                // 000000003118: 240C0C82
	v_lshlrev_b32_e32 v7, 2, v7                                // 00000000311C: 240E0E82
	buffer_load_dword v13, v6, s[28:31], 0 offen               // 000000003120: E0501000 80070D06
	buffer_load_dword v14, v7, s[28:31], 0 offen               // 000000003128: E0501000 80070E07
	buffer_load_dword v15, v10, s[32:35], 0 offen              // 000000003130: E0501000 80080F0A
	buffer_load_dword v16, v11, s[32:35], 0 offen              // 000000003138: E0501000 8008100B
	s_mul_i32 s60, 4, s65                                      // 000000003140: 923C4184
	s_add_u32 s32, s60, s32                                    // 000000003144: 8020203C
	s_addc_u32 s33, 0, s33                                     // 000000003148: 82212180
	buffer_load_dword v42, v10, s[32:35], 0 offen              // 00000000314C: E0501000 80082A0A
	buffer_load_dword v43, v11, s[32:35], 0 offen              // 000000003154: E0501000 80082B0B
	buffer_load_dword v17, v8, s[40:43], 0 offen               // 00000000315C: E0501000 800A1108
	buffer_load_dword v18, v9, s[40:43], 0 offen               // 000000003164: E0501000 800A1209
	buffer_load_dword v24, s[20:23], 0 offen lds               // 00000000316C: E0511000 80050018
	s_add_u32 m0, 0x100, s50                                   // 000000003174: 807C32FF 00000100
	buffer_load_dword v25, s[20:23], 0 offen lds               // 00000000317C: E0511000 80050019
	s_add_u32 m0, 0x200, s50                                   // 000000003184: 807C32FF 00000200
	buffer_load_dword v26, s[20:23], 0 offen lds               // 00000000318C: E0511000 8005001A
	s_add_u32 m0, 0x300, s50                                   // 000000003194: 807C32FF 00000300
	buffer_load_dword v27, s[20:23], 0 offen lds               // 00000000319C: E0511000 8005001B
	s_add_u32 m0, 0x400, s50                                   // 0000000031A4: 807C32FF 00000400
	buffer_load_dword v28, s[20:23], 0 offen lds               // 0000000031AC: E0511000 8005001C
	s_add_u32 m0, 0x500, s50                                   // 0000000031B4: 807C32FF 00000500
	buffer_load_dword v29, s[20:23], 0 offen lds               // 0000000031BC: E0511000 8005001D
	s_add_u32 m0, 0x600, s50                                   // 0000000031C4: 807C32FF 00000600
	buffer_load_dword v30, s[20:23], 0 offen lds               // 0000000031CC: E0511000 8005001E
	s_add_u32 m0, 0x700, s50                                   // 0000000031D4: 807C32FF 00000700
	buffer_load_dword v31, s[20:23], 0 offen lds               // 0000000031DC: E0511000 8005001F
	s_add_u32 m0, 0, s51                                       // 0000000031E4: 807C3380
	s_add_u32 s20, s57, s20                                    // 0000000031E8: 80141439
	s_addc_u32 s21, 0, s21                                     // 0000000031EC: 82151580
	buffer_load_dwordx4 a[0:3], v32, s[24:27], 0 offen         // 0000000031F0: E05C1000 80860020
	buffer_load_dwordx4 a[4:7], v32, s[24:27], 0 offen offset:1024// 0000000031F8: E05C1400 80860420
	buffer_load_dwordx4 a[8:11], v32, s[24:27], 0 offen offset:2048// 000000003200: E05C1800 80860820
	buffer_load_dwordx4 a[12:15], v32, s[24:27], 0 offen offset:3072// 000000003208: E05C1C00 80860C20
	buffer_load_dwordx4 a[16:19], v33, s[24:27], 0 offen       // 000000003210: E05C1000 80861021
	buffer_load_dwordx4 a[20:23], v33, s[24:27], 0 offen offset:1024// 000000003218: E05C1400 80861421
	buffer_load_dwordx4 a[24:27], v33, s[24:27], 0 offen offset:2048// 000000003220: E05C1800 80861821
	buffer_load_dwordx4 a[28:31], v33, s[24:27], 0 offen offset:3072// 000000003228: E05C1C00 80861C21
	s_add_u32 s24, s58, s24                                    // 000000003230: 8018183A
	s_addc_u32 s25, 0, s25                                     // 000000003234: 82191980
	v_mov_b32_e32 v128, 0                                      // 000000003238: 7F000280
	v_mov_b32_e32 v64, 0                                       // 00000000323C: 7E800280
	v_mov_b32_e32 v129, 0                                      // 000000003240: 7F020280
	v_mov_b32_e32 v65, 0                                       // 000000003244: 7E820280
	v_mov_b32_e32 v130, 0                                      // 000000003248: 7F040280
	v_mov_b32_e32 v66, 0                                       // 00000000324C: 7E840280
	v_mov_b32_e32 v131, 0                                      // 000000003250: 7F060280
	v_mov_b32_e32 v67, 0                                       // 000000003254: 7E860280
	v_mov_b32_e32 v132, 0                                      // 000000003258: 7F080280
	v_mov_b32_e32 v68, 0                                       // 00000000325C: 7E880280
	v_mov_b32_e32 v133, 0                                      // 000000003260: 7F0A0280
	v_mov_b32_e32 v69, 0                                       // 000000003264: 7E8A0280
	v_mov_b32_e32 v134, 0                                      // 000000003268: 7F0C0280
	v_mov_b32_e32 v70, 0                                       // 00000000326C: 7E8C0280
	v_mov_b32_e32 v135, 0                                      // 000000003270: 7F0E0280
	v_mov_b32_e32 v71, 0                                       // 000000003274: 7E8E0280
	v_mov_b32_e32 v136, 0                                      // 000000003278: 7F100280
	v_mov_b32_e32 v72, 0                                       // 00000000327C: 7E900280
	v_mov_b32_e32 v137, 0                                      // 000000003280: 7F120280
	v_mov_b32_e32 v73, 0                                       // 000000003284: 7E920280
	v_mov_b32_e32 v138, 0                                      // 000000003288: 7F140280
	v_mov_b32_e32 v74, 0                                       // 00000000328C: 7E940280
	v_mov_b32_e32 v139, 0                                      // 000000003290: 7F160280
	v_mov_b32_e32 v75, 0                                       // 000000003294: 7E960280
	v_mov_b32_e32 v140, 0                                      // 000000003298: 7F180280
	v_mov_b32_e32 v76, 0                                       // 00000000329C: 7E980280
	v_mov_b32_e32 v141, 0                                      // 0000000032A0: 7F1A0280
	v_mov_b32_e32 v77, 0                                       // 0000000032A4: 7E9A0280
	v_mov_b32_e32 v142, 0                                      // 0000000032A8: 7F1C0280
	v_mov_b32_e32 v78, 0                                       // 0000000032AC: 7E9C0280
	v_mov_b32_e32 v143, 0                                      // 0000000032B0: 7F1E0280
	v_mov_b32_e32 v79, 0                                       // 0000000032B4: 7E9E0280
	v_lshrrev_b32_e32 v44, 4, v0                               // 0000000032B8: 20580084
	v_mul_i32_i24_e32 v3, 34, v44                              // 0000000032BC: 0C0658A2
	v_and_b32_e32 v44, 15, v0                                  // 0000000032C0: 2658008F
	v_mul_i32_i24_e32 v45, 2, v44                              // 0000000032C4: 0C5A5882
	v_add_u32_e32 v3, v45, v3                                  // 0000000032C8: 6806072D
	s_mul_i32 s60, s7, 0x88                                    // 0000000032CC: 923CFF07 00000088
	v_add_u32_e32 v3, s60, v3                                  // 0000000032D4: 6806063C
	v_lshlrev_b32_e32 v3, 2, v3                                // 0000000032D8: 24060682
	v_lshrrev_b32_e32 v44, 1, v0                               // 0000000032DC: 20580081
	v_mul_i32_i24_e32 v4, 34, v44                              // 0000000032E0: 0C0858A2
	v_and_b32_e32 v45, 1, v0                                   // 0000000032E4: 265A0081
	v_add_u32_e32 v4, v45, v4                                  // 0000000032E8: 6808092D
	s_mul_i32 s60, s7, 2                                       // 0000000032EC: 923C8207
	v_add_u32_e32 v4, s60, v4                                  // 0000000032F0: 6808083C
	v_lshlrev_b32_e32 v4, 2, v4                                // 0000000032F4: 24080882
	s_waitcnt vmcnt(8)                                         // 0000000032F8: BF8C0F78
	s_barrier                                                  // 0000000032FC: BF8A0000
	ds_read_b128 v[144:147], v2                                // 000000003300: D9FE0000 90000002
	ds_read_b128 v[148:151], v2 offset:64                      // 000000003308: D9FE0040 94000002
	ds_read_b128 v[152:155], v2 offset:128                     // 000000003310: D9FE0080 98000002
	ds_read_b128 v[156:159], v2 offset:192                     // 000000003318: D9FE00C0 9C000002
	ds_read_b128 v[160:163], v2 offset:1024                    // 000000003320: D9FE0400 A0000002
	ds_read_b128 v[164:167], v2 offset:1088                    // 000000003328: D9FE0440 A4000002
	ds_read_b128 v[168:171], v2 offset:1152                    // 000000003330: D9FE0480 A8000002
	ds_read_b128 v[172:175], v2 offset:1216                    // 000000003338: D9FE04C0 AC000002
	s_cmp_lt_i32 s7, 2                                         // 000000003340: BF048207
	s_cbranch_scc0 label_0A75                                  // 000000003344: BF840863

0000000000003348 <label_0212>:
	s_waitcnt vmcnt(0) lgkmcnt(0)                              // 000000003348: BF8C0070
	s_barrier                                                  // 00000000334C: BF8A0000
	v_mfma_f32_16x16x32_fp8_fp8 v[128:131], a[0:1], v[144:145], v[128:131]// 000000003350: D3F30080 0E032100
	v_mfma_f32_16x16x32_fp8_fp8 v[128:131], a[2:3], v[146:147], v[128:131]// 000000003358: D3F30080 0E032502
	buffer_load_dwordx4 a[32:35], v32, s[92:95], 0 offen       // 000000003360: E05C1000 80972020
	v_mfma_f32_16x16x32_fp8_fp8 v[128:131], a[4:5], v[148:149], v[128:131]// 000000003368: D3F30080 0E032904
	v_mfma_f32_16x16x32_fp8_fp8 v[128:131], a[6:7], v[150:151], v[128:131]// 000000003370: D3F30080 0E032D06
	buffer_load_dword v24, s[20:23], 0 offen lds               // 000000003378: E0511000 80050018
	s_add_u32 m0, 0x100, s51                                   // 000000003380: 807C33FF 00000100
	v_mfma_f32_16x16x32_fp8_fp8 v[128:131], a[8:9], v[152:153], v[128:131]// 000000003388: D3F30080 0E033108
	v_mfma_f32_16x16x32_fp8_fp8 v[128:131], a[10:11], v[154:155], v[128:131]// 000000003390: D3F30080 0E03350A
	buffer_load_dwordx4 a[36:39], v32, s[92:95], 0 offen offset:1024// 000000003398: E05C1400 80972420
	v_mfma_f32_16x16x32_fp8_fp8 v[128:131], a[12:13], v[156:157], v[128:131]// 0000000033A0: D3F30080 0E03390C
	v_mfma_f32_16x16x32_fp8_fp8 v[128:131], a[14:15], v[158:159], v[128:131]// 0000000033A8: D3F30080 0E033D0E
	buffer_load_dword v25, s[20:23], 0 offen lds               // 0000000033B0: E0511000 80050019
	s_add_u32 m0, 0x200, s51                                   // 0000000033B8: 807C33FF 00000200
	v_mfma_f32_16x16x32_fp8_fp8 v[132:135], a[0:1], v[160:161], v[132:135]// 0000000033C0: D3F30084 0E134100
	v_mfma_f32_16x16x32_fp8_fp8 v[132:135], a[2:3], v[162:163], v[132:135]// 0000000033C8: D3F30084 0E134502
	buffer_load_dwordx4 a[40:43], v32, s[92:95], 0 offen offset:2048// 0000000033D0: E05C1800 80972820
	v_mfma_f32_16x16x32_fp8_fp8 v[132:135], a[4:5], v[164:165], v[132:135]// 0000000033D8: D3F30084 0E134904
	v_mfma_f32_16x16x32_fp8_fp8 v[132:135], a[6:7], v[166:167], v[132:135]// 0000000033E0: D3F30084 0E134D06
	buffer_load_dword v26, s[20:23], 0 offen lds               // 0000000033E8: E0511000 8005001A
	s_add_u32 m0, 0x300, s51                                   // 0000000033F0: 807C33FF 00000300
	v_mfma_f32_16x16x32_fp8_fp8 v[132:135], a[8:9], v[168:169], v[132:135]// 0000000033F8: D3F30084 0E135108
	v_mfma_f32_16x16x32_fp8_fp8 v[132:135], a[10:11], v[170:171], v[132:135]// 000000003400: D3F30084 0E13550A
	buffer_load_dwordx4 a[44:47], v32, s[92:95], 0 offen offset:3072// 000000003408: E05C1C00 80972C20
	v_mfma_f32_16x16x32_fp8_fp8 v[132:135], a[12:13], v[172:173], v[132:135]// 000000003410: D3F30084 0E13590C
	v_mfma_f32_16x16x32_fp8_fp8 v[132:135], a[14:15], v[174:175], v[132:135]// 000000003418: D3F30084 0E135D0E
	buffer_load_dword v27, s[20:23], 0 offen lds               // 000000003420: E0511000 8005001B
	s_add_u32 m0, 0x400, s51                                   // 000000003428: 807C33FF 00000400
	v_mfma_f32_16x16x32_fp8_fp8 v[136:139], a[16:17], v[144:145], v[136:139]// 000000003430: D3F30088 0E232110
	v_mfma_f32_16x16x32_fp8_fp8 v[136:139], a[18:19], v[146:147], v[136:139]// 000000003438: D3F30088 0E232512
	buffer_load_dwordx4 a[48:51], v33, s[92:95], 0 offen       // 000000003440: E05C1000 80973021
	v_mfma_f32_16x16x32_fp8_fp8 v[136:139], a[20:21], v[148:149], v[136:139]// 000000003448: D3F30088 0E232914
	v_mfma_f32_16x16x32_fp8_fp8 v[136:139], a[22:23], v[150:151], v[136:139]// 000000003450: D3F30088 0E232D16
	buffer_load_dword v28, s[20:23], 0 offen lds               // 000000003458: E0511000 8005001C
	s_add_u32 m0, 0x500, s51                                   // 000000003460: 807C33FF 00000500
	v_mfma_f32_16x16x32_fp8_fp8 v[136:139], a[24:25], v[152:153], v[136:139]// 000000003468: D3F30088 0E233118
	v_mfma_f32_16x16x32_fp8_fp8 v[136:139], a[26:27], v[154:155], v[136:139]// 000000003470: D3F30088 0E23351A
	buffer_load_dwordx4 a[52:55], v33, s[92:95], 0 offen offset:1024// 000000003478: E05C1400 80973421
	v_mfma_f32_16x16x32_fp8_fp8 v[136:139], a[28:29], v[156:157], v[136:139]// 000000003480: D3F30088 0E23391C
	v_mfma_f32_16x16x32_fp8_fp8 v[136:139], a[30:31], v[158:159], v[136:139]// 000000003488: D3F30088 0E233D1E
	buffer_load_dword v29, s[20:23], 0 offen lds               // 000000003490: E0511000 8005001D
	s_add_u32 m0, 0x600, s51                                   // 000000003498: 807C33FF 00000600
	v_mfma_f32_16x16x32_fp8_fp8 v[140:143], a[16:17], v[160:161], v[140:143]// 0000000034A0: D3F3008C 0E334110
	v_mfma_f32_16x16x32_fp8_fp8 v[140:143], a[18:19], v[162:163], v[140:143]// 0000000034A8: D3F3008C 0E334512
	buffer_load_dwordx4 a[56:59], v33, s[92:95], 0 offen offset:2048// 0000000034B0: E05C1800 80973821
	v_mfma_f32_16x16x32_fp8_fp8 v[140:143], a[20:21], v[164:165], v[140:143]// 0000000034B8: D3F3008C 0E334914
	v_mfma_f32_16x16x32_fp8_fp8 v[140:143], a[22:23], v[166:167], v[140:143]// 0000000034C0: D3F3008C 0E334D16
	buffer_load_dword v30, s[20:23], 0 offen lds               // 0000000034C8: E0511000 8005001E
	s_add_u32 m0, 0x700, s51                                   // 0000000034D0: 807C33FF 00000700
	v_mfma_f32_16x16x32_fp8_fp8 v[140:143], a[24:25], v[168:169], v[140:143]// 0000000034D8: D3F3008C 0E335118
	v_mfma_f32_16x16x32_fp8_fp8 v[140:143], a[26:27], v[170:171], v[140:143]// 0000000034E0: D3F3008C 0E33551A
	buffer_load_dwordx4 a[60:63], v33, s[92:95], 0 offen offset:3072// 0000000034E8: E05C1C00 80973C21
	v_mfma_f32_16x16x32_fp8_fp8 v[140:143], a[28:29], v[172:173], v[140:143]// 0000000034F0: D3F3008C 0E33591C
	v_mfma_f32_16x16x32_fp8_fp8 v[140:143], a[30:31], v[174:175], v[140:143]// 0000000034F8: D3F3008C 0E335D1E
	buffer_load_dword v31, s[20:23], 0 offen lds               // 000000003500: E0511000 8005001F
	s_add_u32 m0, 0, s50                                       // 000000003508: 807C3280
	s_waitcnt vmcnt(0)                                         // 00000000350C: BF8C0F70
	s_barrier                                                  // 000000003510: BF8A0000
	v_mfma_f32_16x16x32_fp8_fp8 v[64:67], a[32:33], v[144:145], v[64:67]// 000000003514: D3F30040 0D032120
	v_mfma_f32_16x16x32_fp8_fp8 v[64:67], a[34:35], v[146:147], v[64:67]// 00000000351C: D3F30040 0D032522
	buffer_load_dwordx4 a[0:3], v32, s[24:27], 0 offen         // 000000003524: E05C1000 80860020
	v_mfma_f32_16x16x32_fp8_fp8 v[64:67], a[36:37], v[148:149], v[64:67]// 00000000352C: D3F30040 0D032924
	v_mfma_f32_16x16x32_fp8_fp8 v[64:67], a[38:39], v[150:151], v[64:67]// 000000003534: D3F30040 0D032D26
	ds_read_b128 v[176:179], v2 offset:8320                    // 00000000353C: D9FE2080 B0000002
	v_mfma_f32_16x16x32_fp8_fp8 v[64:67], a[40:41], v[152:153], v[64:67]// 000000003544: D3F30040 0D033128
	v_mfma_f32_16x16x32_fp8_fp8 v[64:67], a[42:43], v[154:155], v[64:67]// 00000000354C: D3F30040 0D03352A
	buffer_load_dwordx4 a[4:7], v32, s[24:27], 0 offen offset:1024// 000000003554: E05C1400 80860420
	v_mfma_f32_16x16x32_fp8_fp8 v[64:67], a[44:45], v[156:157], v[64:67]// 00000000355C: D3F30040 0D03392C
	v_mfma_f32_16x16x32_fp8_fp8 v[64:67], a[46:47], v[158:159], v[64:67]// 000000003564: D3F30040 0D033D2E
	ds_read_b128 v[180:183], v2 offset:8384                    // 00000000356C: D9FE20C0 B4000002
	v_mfma_f32_16x16x32_fp8_fp8 v[68:71], a[32:33], v[160:161], v[68:71]// 000000003574: D3F30044 0D134120
	v_mfma_f32_16x16x32_fp8_fp8 v[68:71], a[34:35], v[162:163], v[68:71]// 00000000357C: D3F30044 0D134522
	buffer_load_dwordx4 a[8:11], v32, s[24:27], 0 offen offset:2048// 000000003584: E05C1800 80860820
	v_mfma_f32_16x16x32_fp8_fp8 v[68:71], a[36:37], v[164:165], v[68:71]// 00000000358C: D3F30044 0D134924
	v_mfma_f32_16x16x32_fp8_fp8 v[68:71], a[38:39], v[166:167], v[68:71]// 000000003594: D3F30044 0D134D26
	ds_read_b128 v[184:187], v2 offset:8448                    // 00000000359C: D9FE2100 B8000002
	v_mfma_f32_16x16x32_fp8_fp8 v[68:71], a[40:41], v[168:169], v[68:71]// 0000000035A4: D3F30044 0D135128
	v_mfma_f32_16x16x32_fp8_fp8 v[68:71], a[42:43], v[170:171], v[68:71]// 0000000035AC: D3F30044 0D13552A
	buffer_load_dwordx4 a[12:15], v32, s[24:27], 0 offen offset:3072// 0000000035B4: E05C1C00 80860C20
	v_mfma_f32_16x16x32_fp8_fp8 v[68:71], a[44:45], v[172:173], v[68:71]// 0000000035BC: D3F30044 0D13592C
	v_mfma_f32_16x16x32_fp8_fp8 v[68:71], a[46:47], v[174:175], v[68:71]// 0000000035C4: D3F30044 0D135D2E
	ds_read_b128 v[188:191], v2 offset:8512                    // 0000000035CC: D9FE2140 BC000002
	v_mfma_f32_16x16x32_fp8_fp8 v[72:75], a[48:49], v[144:145], v[72:75]// 0000000035D4: D3F30048 0D232130
	v_mfma_f32_16x16x32_fp8_fp8 v[72:75], a[50:51], v[146:147], v[72:75]// 0000000035DC: D3F30048 0D232532
	buffer_load_dwordx4 a[16:19], v33, s[24:27], 0 offen       // 0000000035E4: E05C1000 80861021
	v_mfma_f32_16x16x32_fp8_fp8 v[72:75], a[52:53], v[148:149], v[72:75]// 0000000035EC: D3F30048 0D232934
	v_mfma_f32_16x16x32_fp8_fp8 v[72:75], a[54:55], v[150:151], v[72:75]// 0000000035F4: D3F30048 0D232D36
	ds_read_b128 v[192:195], v2 offset:9344                    // 0000000035FC: D9FE2480 C0000002
	v_mfma_f32_16x16x32_fp8_fp8 v[72:75], a[56:57], v[152:153], v[72:75]// 000000003604: D3F30048 0D233138
	v_mfma_f32_16x16x32_fp8_fp8 v[72:75], a[58:59], v[154:155], v[72:75]// 00000000360C: D3F30048 0D23353A
	buffer_load_dwordx4 a[20:23], v33, s[24:27], 0 offen offset:1024// 000000003614: E05C1400 80861421
	v_mfma_f32_16x16x32_fp8_fp8 v[72:75], a[60:61], v[156:157], v[72:75]// 00000000361C: D3F30048 0D23393C
	v_mfma_f32_16x16x32_fp8_fp8 v[72:75], a[62:63], v[158:159], v[72:75]// 000000003624: D3F30048 0D233D3E
	ds_read_b128 v[196:199], v2 offset:9408                    // 00000000362C: D9FE24C0 C4000002
	v_mfma_f32_16x16x32_fp8_fp8 v[76:79], a[48:49], v[160:161], v[76:79]// 000000003634: D3F3004C 0D334130
	v_mfma_f32_16x16x32_fp8_fp8 v[76:79], a[50:51], v[162:163], v[76:79]// 00000000363C: D3F3004C 0D334532
	buffer_load_dwordx4 a[24:27], v33, s[24:27], 0 offen offset:2048// 000000003644: E05C1800 80861821
	v_mfma_f32_16x16x32_fp8_fp8 v[76:79], a[52:53], v[164:165], v[76:79]// 00000000364C: D3F3004C 0D334934
	v_mfma_f32_16x16x32_fp8_fp8 v[76:79], a[54:55], v[166:167], v[76:79]// 000000003654: D3F3004C 0D334D36
	ds_read_b128 v[200:203], v2 offset:9472                    // 00000000365C: D9FE2500 C8000002
	v_mfma_f32_16x16x32_fp8_fp8 v[76:79], a[56:57], v[168:169], v[76:79]// 000000003664: D3F3004C 0D335138
	v_mfma_f32_16x16x32_fp8_fp8 v[76:79], a[58:59], v[170:171], v[76:79]// 00000000366C: D3F3004C 0D33553A
	buffer_load_dwordx4 a[28:31], v33, s[24:27], 0 offen offset:3072// 000000003674: E05C1C00 80861C21
	v_mfma_f32_16x16x32_fp8_fp8 v[76:79], a[60:61], v[172:173], v[76:79]// 00000000367C: D3F3004C 0D33593C
	v_mfma_f32_16x16x32_fp8_fp8 v[76:79], a[62:63], v[174:175], v[76:79]// 000000003684: D3F3004C 0D335D3E
	ds_read_b128 v[204:207], v2 offset:9536                    // 00000000368C: D9FE2540 CC000002
	s_add_u32 s60, 0x200, s80                                  // 000000003694: 803C50FF 00000200
	s_cmp_lt_u32 s60, s81                                      // 00000000369C: BF0A513C
	s_cselect_b32 s57, s57, 0                                  // 0000000036A0: 85398039
	s_add_u32 s60, 0x200, s80                                  // 0000000036A4: 803C50FF 00000200
	s_cmp_lt_u32 s60, s81                                      // 0000000036AC: BF0A513C
	s_cselect_b32 s58, s58, 0                                  // 0000000036B0: 853A803A
	s_add_u32 s20, s57, s20                                    // 0000000036B4: 80141439
	s_addc_u32 s21, 0, s21                                     // 0000000036B8: 82151580
	s_add_u32 s24, s58, s24                                    // 0000000036BC: 8018183A
	s_addc_u32 s25, 0, s25                                     // 0000000036C0: 82191980
	s_add_u32 s92, s90, s92                                    // 0000000036C4: 805C5C5A
	s_addc_u32 s93, 0, s93                                     // 0000000036C8: 825D5D80
	s_addk_i32 s80, 0x100                                      // 0000000036CC: B7500100
	s_cmp_lt_i32 s80, s81                                      // 0000000036D0: BF045150
	s_cbranch_scc0 label_03DB                                  // 0000000036D4: BF8400E5
	s_waitcnt vmcnt(0) lgkmcnt(0)                              // 0000000036D8: BF8C0070
	s_barrier                                                  // 0000000036DC: BF8A0000
	v_mfma_f32_16x16x32_fp8_fp8 v[128:131], a[0:1], v[176:177], v[128:131]// 0000000036E0: D3F30080 0E036100
	v_mfma_f32_16x16x32_fp8_fp8 v[128:131], a[2:3], v[178:179], v[128:131]// 0000000036E8: D3F30080 0E036502
	buffer_load_dwordx4 a[32:35], v32, s[92:95], 0 offen       // 0000000036F0: E05C1000 80972020
	v_mfma_f32_16x16x32_fp8_fp8 v[128:131], a[4:5], v[180:181], v[128:131]// 0000000036F8: D3F30080 0E036904
	v_mfma_f32_16x16x32_fp8_fp8 v[128:131], a[6:7], v[182:183], v[128:131]// 000000003700: D3F30080 0E036D06
	buffer_load_dword v24, s[20:23], 0 offen lds               // 000000003708: E0511000 80050018
	s_add_u32 m0, 0x100, s50                                   // 000000003710: 807C32FF 00000100
	v_mfma_f32_16x16x32_fp8_fp8 v[128:131], a[8:9], v[184:185], v[128:131]// 000000003718: D3F30080 0E037108
	v_mfma_f32_16x16x32_fp8_fp8 v[128:131], a[10:11], v[186:187], v[128:131]// 000000003720: D3F30080 0E03750A
	buffer_load_dwordx4 a[36:39], v32, s[92:95], 0 offen offset:1024// 000000003728: E05C1400 80972420
	v_mfma_f32_16x16x32_fp8_fp8 v[128:131], a[12:13], v[188:189], v[128:131]// 000000003730: D3F30080 0E03790C
	v_mfma_f32_16x16x32_fp8_fp8 v[128:131], a[14:15], v[190:191], v[128:131]// 000000003738: D3F30080 0E037D0E
	buffer_load_dword v25, s[20:23], 0 offen lds               // 000000003740: E0511000 80050019
	s_add_u32 m0, 0x200, s50                                   // 000000003748: 807C32FF 00000200
	v_mfma_f32_16x16x32_fp8_fp8 v[132:135], a[0:1], v[192:193], v[132:135]// 000000003750: D3F30084 0E138100
	v_mfma_f32_16x16x32_fp8_fp8 v[132:135], a[2:3], v[194:195], v[132:135]// 000000003758: D3F30084 0E138502
	buffer_load_dwordx4 a[40:43], v32, s[92:95], 0 offen offset:2048// 000000003760: E05C1800 80972820
	v_mfma_f32_16x16x32_fp8_fp8 v[132:135], a[4:5], v[196:197], v[132:135]// 000000003768: D3F30084 0E138904
	v_mfma_f32_16x16x32_fp8_fp8 v[132:135], a[6:7], v[198:199], v[132:135]// 000000003770: D3F30084 0E138D06
	buffer_load_dword v26, s[20:23], 0 offen lds               // 000000003778: E0511000 8005001A
	s_add_u32 m0, 0x300, s50                                   // 000000003780: 807C32FF 00000300
	v_mfma_f32_16x16x32_fp8_fp8 v[132:135], a[8:9], v[200:201], v[132:135]// 000000003788: D3F30084 0E139108
	v_mfma_f32_16x16x32_fp8_fp8 v[132:135], a[10:11], v[202:203], v[132:135]// 000000003790: D3F30084 0E13950A
	buffer_load_dwordx4 a[44:47], v32, s[92:95], 0 offen offset:3072// 000000003798: E05C1C00 80972C20
	v_mfma_f32_16x16x32_fp8_fp8 v[132:135], a[12:13], v[204:205], v[132:135]// 0000000037A0: D3F30084 0E13990C
	v_mfma_f32_16x16x32_fp8_fp8 v[132:135], a[14:15], v[206:207], v[132:135]// 0000000037A8: D3F30084 0E139D0E
	buffer_load_dword v27, s[20:23], 0 offen lds               // 0000000037B0: E0511000 8005001B
	s_add_u32 m0, 0x400, s50                                   // 0000000037B8: 807C32FF 00000400
	v_mfma_f32_16x16x32_fp8_fp8 v[136:139], a[16:17], v[176:177], v[136:139]// 0000000037C0: D3F30088 0E236110
	v_mfma_f32_16x16x32_fp8_fp8 v[136:139], a[18:19], v[178:179], v[136:139]// 0000000037C8: D3F30088 0E236512
	buffer_load_dwordx4 a[48:51], v33, s[92:95], 0 offen       // 0000000037D0: E05C1000 80973021
	v_mfma_f32_16x16x32_fp8_fp8 v[136:139], a[20:21], v[180:181], v[136:139]// 0000000037D8: D3F30088 0E236914
	v_mfma_f32_16x16x32_fp8_fp8 v[136:139], a[22:23], v[182:183], v[136:139]// 0000000037E0: D3F30088 0E236D16
	buffer_load_dword v28, s[20:23], 0 offen lds               // 0000000037E8: E0511000 8005001C
	s_add_u32 m0, 0x500, s50                                   // 0000000037F0: 807C32FF 00000500
	v_mfma_f32_16x16x32_fp8_fp8 v[136:139], a[24:25], v[184:185], v[136:139]// 0000000037F8: D3F30088 0E237118
	v_mfma_f32_16x16x32_fp8_fp8 v[136:139], a[26:27], v[186:187], v[136:139]// 000000003800: D3F30088 0E23751A
	buffer_load_dwordx4 a[52:55], v33, s[92:95], 0 offen offset:1024// 000000003808: E05C1400 80973421
	v_mfma_f32_16x16x32_fp8_fp8 v[136:139], a[28:29], v[188:189], v[136:139]// 000000003810: D3F30088 0E23791C
	v_mfma_f32_16x16x32_fp8_fp8 v[136:139], a[30:31], v[190:191], v[136:139]// 000000003818: D3F30088 0E237D1E
	buffer_load_dword v29, s[20:23], 0 offen lds               // 000000003820: E0511000 8005001D
	s_add_u32 m0, 0x600, s50                                   // 000000003828: 807C32FF 00000600
	v_mfma_f32_16x16x32_fp8_fp8 v[140:143], a[16:17], v[192:193], v[140:143]// 000000003830: D3F3008C 0E338110
	v_mfma_f32_16x16x32_fp8_fp8 v[140:143], a[18:19], v[194:195], v[140:143]// 000000003838: D3F3008C 0E338512
	buffer_load_dwordx4 a[56:59], v33, s[92:95], 0 offen offset:2048// 000000003840: E05C1800 80973821
	v_mfma_f32_16x16x32_fp8_fp8 v[140:143], a[20:21], v[196:197], v[140:143]// 000000003848: D3F3008C 0E338914
	v_mfma_f32_16x16x32_fp8_fp8 v[140:143], a[22:23], v[198:199], v[140:143]// 000000003850: D3F3008C 0E338D16
	buffer_load_dword v30, s[20:23], 0 offen lds               // 000000003858: E0511000 8005001E
	s_add_u32 m0, 0x700, s50                                   // 000000003860: 807C32FF 00000700
	v_mfma_f32_16x16x32_fp8_fp8 v[140:143], a[24:25], v[200:201], v[140:143]// 000000003868: D3F3008C 0E339118
	v_mfma_f32_16x16x32_fp8_fp8 v[140:143], a[26:27], v[202:203], v[140:143]// 000000003870: D3F3008C 0E33951A
	buffer_load_dwordx4 a[60:63], v33, s[92:95], 0 offen offset:3072// 000000003878: E05C1C00 80973C21
	v_mfma_f32_16x16x32_fp8_fp8 v[140:143], a[28:29], v[204:205], v[140:143]// 000000003880: D3F3008C 0E33991C
	v_mfma_f32_16x16x32_fp8_fp8 v[140:143], a[30:31], v[206:207], v[140:143]// 000000003888: D3F3008C 0E339D1E
	buffer_load_dword v31, s[20:23], 0 offen lds               // 000000003890: E0511000 8005001F
	s_add_u32 m0, 0, s51                                       // 000000003898: 807C3380
	s_waitcnt vmcnt(0)                                         // 00000000389C: BF8C0F70
	s_barrier                                                  // 0000000038A0: BF8A0000
	v_mfma_f32_16x16x32_fp8_fp8 v[64:67], a[32:33], v[176:177], v[64:67]// 0000000038A4: D3F30040 0D036120
	v_mfma_f32_16x16x32_fp8_fp8 v[64:67], a[34:35], v[178:179], v[64:67]// 0000000038AC: D3F30040 0D036522
	buffer_load_dwordx4 a[0:3], v32, s[24:27], 0 offen         // 0000000038B4: E05C1000 80860020
	v_mfma_f32_16x16x32_fp8_fp8 v[64:67], a[36:37], v[180:181], v[64:67]// 0000000038BC: D3F30040 0D036924
	v_mfma_f32_16x16x32_fp8_fp8 v[64:67], a[38:39], v[182:183], v[64:67]// 0000000038C4: D3F30040 0D036D26
	ds_read_b128 v[144:147], v2                                // 0000000038CC: D9FE0000 90000002
	v_mfma_f32_16x16x32_fp8_fp8 v[64:67], a[40:41], v[184:185], v[64:67]// 0000000038D4: D3F30040 0D037128
	v_mfma_f32_16x16x32_fp8_fp8 v[64:67], a[42:43], v[186:187], v[64:67]// 0000000038DC: D3F30040 0D03752A
	buffer_load_dwordx4 a[4:7], v32, s[24:27], 0 offen offset:1024// 0000000038E4: E05C1400 80860420
	v_mfma_f32_16x16x32_fp8_fp8 v[64:67], a[44:45], v[188:189], v[64:67]// 0000000038EC: D3F30040 0D03792C
	v_mfma_f32_16x16x32_fp8_fp8 v[64:67], a[46:47], v[190:191], v[64:67]// 0000000038F4: D3F30040 0D037D2E
	ds_read_b128 v[148:151], v2 offset:64                      // 0000000038FC: D9FE0040 94000002
	v_mfma_f32_16x16x32_fp8_fp8 v[68:71], a[32:33], v[192:193], v[68:71]// 000000003904: D3F30044 0D138120
	v_mfma_f32_16x16x32_fp8_fp8 v[68:71], a[34:35], v[194:195], v[68:71]// 00000000390C: D3F30044 0D138522
	buffer_load_dwordx4 a[8:11], v32, s[24:27], 0 offen offset:2048// 000000003914: E05C1800 80860820
	v_mfma_f32_16x16x32_fp8_fp8 v[68:71], a[36:37], v[196:197], v[68:71]// 00000000391C: D3F30044 0D138924
	v_mfma_f32_16x16x32_fp8_fp8 v[68:71], a[38:39], v[198:199], v[68:71]// 000000003924: D3F30044 0D138D26
	ds_read_b128 v[152:155], v2 offset:128                     // 00000000392C: D9FE0080 98000002
	v_mfma_f32_16x16x32_fp8_fp8 v[68:71], a[40:41], v[200:201], v[68:71]// 000000003934: D3F30044 0D139128
	v_mfma_f32_16x16x32_fp8_fp8 v[68:71], a[42:43], v[202:203], v[68:71]// 00000000393C: D3F30044 0D13952A
	buffer_load_dwordx4 a[12:15], v32, s[24:27], 0 offen offset:3072// 000000003944: E05C1C00 80860C20
	v_mfma_f32_16x16x32_fp8_fp8 v[68:71], a[44:45], v[204:205], v[68:71]// 00000000394C: D3F30044 0D13992C
	v_mfma_f32_16x16x32_fp8_fp8 v[68:71], a[46:47], v[206:207], v[68:71]// 000000003954: D3F30044 0D139D2E
	ds_read_b128 v[156:159], v2 offset:192                     // 00000000395C: D9FE00C0 9C000002
	v_mfma_f32_16x16x32_fp8_fp8 v[72:75], a[48:49], v[176:177], v[72:75]// 000000003964: D3F30048 0D236130
	v_mfma_f32_16x16x32_fp8_fp8 v[72:75], a[50:51], v[178:179], v[72:75]// 00000000396C: D3F30048 0D236532
	buffer_load_dwordx4 a[16:19], v33, s[24:27], 0 offen       // 000000003974: E05C1000 80861021
	v_mfma_f32_16x16x32_fp8_fp8 v[72:75], a[52:53], v[180:181], v[72:75]// 00000000397C: D3F30048 0D236934
	v_mfma_f32_16x16x32_fp8_fp8 v[72:75], a[54:55], v[182:183], v[72:75]// 000000003984: D3F30048 0D236D36
	ds_read_b128 v[160:163], v2 offset:1024                    // 00000000398C: D9FE0400 A0000002
	v_mfma_f32_16x16x32_fp8_fp8 v[72:75], a[56:57], v[184:185], v[72:75]// 000000003994: D3F30048 0D237138
	v_mfma_f32_16x16x32_fp8_fp8 v[72:75], a[58:59], v[186:187], v[72:75]// 00000000399C: D3F30048 0D23753A
	buffer_load_dwordx4 a[20:23], v33, s[24:27], 0 offen offset:1024// 0000000039A4: E05C1400 80861421
	v_mfma_f32_16x16x32_fp8_fp8 v[72:75], a[60:61], v[188:189], v[72:75]// 0000000039AC: D3F30048 0D23793C
	v_mfma_f32_16x16x32_fp8_fp8 v[72:75], a[62:63], v[190:191], v[72:75]// 0000000039B4: D3F30048 0D237D3E
	ds_read_b128 v[164:167], v2 offset:1088                    // 0000000039BC: D9FE0440 A4000002
	v_mfma_f32_16x16x32_fp8_fp8 v[76:79], a[48:49], v[192:193], v[76:79]// 0000000039C4: D3F3004C 0D338130
	v_mfma_f32_16x16x32_fp8_fp8 v[76:79], a[50:51], v[194:195], v[76:79]// 0000000039CC: D3F3004C 0D338532
	buffer_load_dwordx4 a[24:27], v33, s[24:27], 0 offen offset:2048// 0000000039D4: E05C1800 80861821
	v_mfma_f32_16x16x32_fp8_fp8 v[76:79], a[52:53], v[196:197], v[76:79]// 0000000039DC: D3F3004C 0D338934
	v_mfma_f32_16x16x32_fp8_fp8 v[76:79], a[54:55], v[198:199], v[76:79]// 0000000039E4: D3F3004C 0D338D36
	ds_read_b128 v[168:171], v2 offset:1152                    // 0000000039EC: D9FE0480 A8000002
	v_mfma_f32_16x16x32_fp8_fp8 v[76:79], a[56:57], v[200:201], v[76:79]// 0000000039F4: D3F3004C 0D339138
	v_mfma_f32_16x16x32_fp8_fp8 v[76:79], a[58:59], v[202:203], v[76:79]// 0000000039FC: D3F3004C 0D33953A
	buffer_load_dwordx4 a[28:31], v33, s[24:27], 0 offen offset:3072// 000000003A04: E05C1C00 80861C21
	v_mfma_f32_16x16x32_fp8_fp8 v[76:79], a[60:61], v[204:205], v[76:79]// 000000003A0C: D3F3004C 0D33993C
	v_mfma_f32_16x16x32_fp8_fp8 v[76:79], a[62:63], v[206:207], v[76:79]// 000000003A14: D3F3004C 0D339D3E
	ds_read_b128 v[172:175], v2 offset:1216                    // 000000003A1C: D9FE04C0 AC000002
	s_add_u32 s60, 0x200, s80                                  // 000000003A24: 803C50FF 00000200
	s_cmp_lt_u32 s60, s81                                      // 000000003A2C: BF0A513C
	s_cselect_b32 s57, s57, 0                                  // 000000003A30: 85398039
	s_add_u32 s60, 0x200, s80                                  // 000000003A34: 803C50FF 00000200
	s_cmp_lt_u32 s60, s81                                      // 000000003A3C: BF0A513C
	s_cselect_b32 s58, s58, 0                                  // 000000003A40: 853A803A
	s_add_u32 s20, s57, s20                                    // 000000003A44: 80141439
	s_addc_u32 s21, 0, s21                                     // 000000003A48: 82151580
	s_add_u32 s24, s58, s24                                    // 000000003A4C: 8018183A
	s_addc_u32 s25, 0, s25                                     // 000000003A50: 82191980
	s_add_u32 s92, s90, s92                                    // 000000003A54: 805C5C5A
	s_addc_u32 s93, 0, s93                                     // 000000003A58: 825D5D80
	s_addk_i32 s80, 0x100                                      // 000000003A5C: B7500100
	s_cmp_lt_i32 s80, s81                                      // 000000003A60: BF045150
	s_cbranch_scc0 label_03DB                                  // 000000003A64: BF840001
	s_branch label_0212                                        // 000000003A68: BF82FE37

0000000000003a6c <label_03DB>:
	s_mov_b32 s36, -1                                          // 000000003A6C: BEA400C1
	s_mov_b32 s37, -1                                          // 000000003A70: BEA500C1
	s_mov_b64 s[60:61], 0                                      // 000000003A74: BEBC0180
	s_cmp_lt_u32 s82, s66                                      // 000000003A78: BF0A4252
	s_cselect_b64 s[20:21], s[36:37], s[60:61]                 // 000000003A7C: 85943C24
	s_cmp_lt_u32 s83, s66                                      // 000000003A80: BF0A4253
	s_cselect_b64 s[22:23], s[36:37], s[60:61]                 // 000000003A84: 85963C24
	s_cmp_lt_u32 s84, s66                                      // 000000003A88: BF0A4254
	s_cselect_b64 s[24:25], s[36:37], s[60:61]                 // 000000003A8C: 85983C24
	s_cmp_lt_u32 s85, s66                                      // 000000003A90: BF0A4255
	s_cselect_b64 s[26:27], s[36:37], s[60:61]                 // 000000003A94: 859A3C24
	s_cmp_lt_u32 s86, s66                                      // 000000003A98: BF0A4256
	s_cselect_b64 s[28:29], s[36:37], s[60:61]                 // 000000003A9C: 859C3C24
	s_cmp_lt_u32 s87, s66                                      // 000000003AA0: BF0A4257
	s_cselect_b64 s[30:31], s[36:37], s[60:61]                 // 000000003AA4: 859E3C24
	s_cmp_lt_u32 s88, s66                                      // 000000003AA8: BF0A4258
	s_cselect_b64 s[32:33], s[36:37], s[60:61]                 // 000000003AAC: 85A03C24
	s_cmp_lt_u32 s89, s66                                      // 000000003AB0: BF0A4259
	s_cselect_b64 s[34:35], s[36:37], s[60:61]                 // 000000003AB4: 85A23C24
	v_mul_f32_e32 v128, v13, v128                              // 000000003AB8: 0B01010D
	v_mul_f32_e32 v129, v13, v129                              // 000000003ABC: 0B03030D
	v_mul_f32_e32 v130, v13, v130                              // 000000003AC0: 0B05050D
	v_mul_f32_e32 v131, v13, v131                              // 000000003AC4: 0B07070D
	v_mul_f32_dpp v128, v15, v128 row_newbcast:0 row_mask:0xf bank_mask:0xf// 000000003AC8: 0B0100FA FF01500F
	v_mul_f32_dpp v129, v15, v129 row_newbcast:1 row_mask:0xf bank_mask:0xf// 000000003AD0: 0B0302FA FF01510F
	v_mul_f32_dpp v130, v15, v130 row_newbcast:2 row_mask:0xf bank_mask:0xf// 000000003AD8: 0B0504FA FF01520F
	v_mul_f32_dpp v131, v15, v131 row_newbcast:3 row_mask:0xf bank_mask:0xf// 000000003AE0: 0B0706FA FF01530F
	v_mul_f32_e32 v132, v14, v132                              // 000000003AE8: 0B09090E
	v_mul_f32_e32 v133, v14, v133                              // 000000003AEC: 0B0B0B0E
	v_mul_f32_e32 v134, v14, v134                              // 000000003AF0: 0B0D0D0E
	v_mul_f32_e32 v135, v14, v135                              // 000000003AF4: 0B0F0F0E
	v_mul_f32_dpp v132, v15, v132 row_newbcast:0 row_mask:0xf bank_mask:0xf// 000000003AF8: 0B0908FA FF01500F
	v_mul_f32_dpp v133, v15, v133 row_newbcast:1 row_mask:0xf bank_mask:0xf// 000000003B00: 0B0B0AFA FF01510F
	v_mul_f32_dpp v134, v15, v134 row_newbcast:2 row_mask:0xf bank_mask:0xf// 000000003B08: 0B0D0CFA FF01520F
	v_mul_f32_dpp v135, v15, v135 row_newbcast:3 row_mask:0xf bank_mask:0xf// 000000003B10: 0B0F0EFA FF01530F
	v_mul_f32_e32 v136, v13, v136                              // 000000003B18: 0B11110D
	v_mul_f32_e32 v137, v13, v137                              // 000000003B1C: 0B13130D
	v_mul_f32_e32 v138, v13, v138                              // 000000003B20: 0B15150D
	v_mul_f32_e32 v139, v13, v139                              // 000000003B24: 0B17170D
	v_mul_f32_dpp v136, v15, v136 row_newbcast:4 row_mask:0xf bank_mask:0xf// 000000003B28: 0B1110FA FF01540F
	v_mul_f32_dpp v137, v15, v137 row_newbcast:5 row_mask:0xf bank_mask:0xf// 000000003B30: 0B1312FA FF01550F
	v_mul_f32_dpp v138, v15, v138 row_newbcast:6 row_mask:0xf bank_mask:0xf// 000000003B38: 0B1514FA FF01560F
	v_mul_f32_dpp v139, v15, v139 row_newbcast:7 row_mask:0xf bank_mask:0xf// 000000003B40: 0B1716FA FF01570F
	v_mul_f32_e32 v140, v14, v140                              // 000000003B48: 0B19190E
	v_mul_f32_e32 v141, v14, v141                              // 000000003B4C: 0B1B1B0E
	v_mul_f32_e32 v142, v14, v142                              // 000000003B50: 0B1D1D0E
	v_mul_f32_e32 v143, v14, v143                              // 000000003B54: 0B1F1F0E
	v_mul_f32_dpp v140, v15, v140 row_newbcast:4 row_mask:0xf bank_mask:0xf// 000000003B58: 0B1918FA FF01540F
	v_mul_f32_dpp v141, v15, v141 row_newbcast:5 row_mask:0xf bank_mask:0xf// 000000003B60: 0B1B1AFA FF01550F
	v_mul_f32_dpp v142, v15, v142 row_newbcast:6 row_mask:0xf bank_mask:0xf// 000000003B68: 0B1D1CFA FF01560F
	v_mul_f32_dpp v143, v15, v143 row_newbcast:7 row_mask:0xf bank_mask:0xf// 000000003B70: 0B1F1EFA FF01570F
	v_mul_f32_e32 v64, v13, v64                                // 000000003B78: 0A80810D
	v_mul_f32_e32 v65, v13, v65                                // 000000003B7C: 0A82830D
	v_mul_f32_e32 v66, v13, v66                                // 000000003B80: 0A84850D
	v_mul_f32_e32 v67, v13, v67                                // 000000003B84: 0A86870D
	v_mul_f32_dpp v64, v42, v64 row_newbcast:0 row_mask:0xf bank_mask:0xf// 000000003B88: 0A8080FA FF01502A
	v_mul_f32_dpp v65, v42, v65 row_newbcast:1 row_mask:0xf bank_mask:0xf// 000000003B90: 0A8282FA FF01512A
	v_mul_f32_dpp v66, v42, v66 row_newbcast:2 row_mask:0xf bank_mask:0xf// 000000003B98: 0A8484FA FF01522A
	v_mul_f32_dpp v67, v42, v67 row_newbcast:3 row_mask:0xf bank_mask:0xf// 000000003BA0: 0A8686FA FF01532A
	v_mul_f32_e32 v68, v14, v68                                // 000000003BA8: 0A88890E
	v_mul_f32_e32 v69, v14, v69                                // 000000003BAC: 0A8A8B0E
	v_mul_f32_e32 v70, v14, v70                                // 000000003BB0: 0A8C8D0E
	v_mul_f32_e32 v71, v14, v71                                // 000000003BB4: 0A8E8F0E
	v_mul_f32_dpp v68, v42, v68 row_newbcast:0 row_mask:0xf bank_mask:0xf// 000000003BB8: 0A8888FA FF01502A
	v_mul_f32_dpp v69, v42, v69 row_newbcast:1 row_mask:0xf bank_mask:0xf// 000000003BC0: 0A8A8AFA FF01512A
	v_mul_f32_dpp v70, v42, v70 row_newbcast:2 row_mask:0xf bank_mask:0xf// 000000003BC8: 0A8C8CFA FF01522A
	v_mul_f32_dpp v71, v42, v71 row_newbcast:3 row_mask:0xf bank_mask:0xf// 000000003BD0: 0A8E8EFA FF01532A
	v_mul_f32_e32 v72, v13, v72                                // 000000003BD8: 0A90910D
	v_mul_f32_e32 v73, v13, v73                                // 000000003BDC: 0A92930D
	v_mul_f32_e32 v74, v13, v74                                // 000000003BE0: 0A94950D
	v_mul_f32_e32 v75, v13, v75                                // 000000003BE4: 0A96970D
	v_mul_f32_dpp v72, v42, v72 row_newbcast:4 row_mask:0xf bank_mask:0xf// 000000003BE8: 0A9090FA FF01542A
	v_mul_f32_dpp v73, v42, v73 row_newbcast:5 row_mask:0xf bank_mask:0xf// 000000003BF0: 0A9292FA FF01552A
	v_mul_f32_dpp v74, v42, v74 row_newbcast:6 row_mask:0xf bank_mask:0xf// 000000003BF8: 0A9494FA FF01562A
	v_mul_f32_dpp v75, v42, v75 row_newbcast:7 row_mask:0xf bank_mask:0xf// 000000003C00: 0A9696FA FF01572A
	v_mul_f32_e32 v76, v14, v76                                // 000000003C08: 0A98990E
	v_mul_f32_e32 v77, v14, v77                                // 000000003C0C: 0A9A9B0E
	v_mul_f32_e32 v78, v14, v78                                // 000000003C10: 0A9C9D0E
	v_mul_f32_e32 v79, v14, v79                                // 000000003C14: 0A9E9F0E
	v_mul_f32_dpp v76, v42, v76 row_newbcast:4 row_mask:0xf bank_mask:0xf// 000000003C18: 0A9898FA FF01542A
	v_mul_f32_dpp v77, v42, v77 row_newbcast:5 row_mask:0xf bank_mask:0xf// 000000003C20: 0A9A9AFA FF01552A
	v_mul_f32_dpp v78, v42, v78 row_newbcast:6 row_mask:0xf bank_mask:0xf// 000000003C28: 0A9C9CFA FF01562A
	v_mul_f32_dpp v79, v42, v79 row_newbcast:7 row_mask:0xf bank_mask:0xf// 000000003C30: 0A9E9EFA FF01572A
	s_waitcnt vmcnt(4)                                         // 000000003C38: BF8C0F74
	buffer_load_dwordx4 a[0:3], v34, s[12:15], 0 offen         // 000000003C3C: E05C1000 80830022
	v_mul_f32_e32 v44, v128, v128                              // 000000003C44: 0A590180
	v_mul_f32_e32 v45, v129, v129                              // 000000003C48: 0A5B0381
	v_mul_f32_e32 v46, v130, v130                              // 000000003C4C: 0A5D0582
	v_mul_f32_e32 v47, v131, v131                              // 000000003C50: 0A5F0783
	v_fma_f32 v44, v44, s77, v1                                // 000000003C54: D1CB002C 04049B2C
	v_fma_f32 v45, v45, s77, v1                                // 000000003C5C: D1CB002D 04049B2D
	v_fma_f32 v46, v46, s77, v1                                // 000000003C64: D1CB002E 04049B2E
	v_fma_f32 v47, v47, s77, v1                                // 000000003C6C: D1CB002F 04049B2F
	v_mul_f32_e32 v44, v44, v128                               // 000000003C74: 0A59012C
	v_mul_f32_e32 v45, v45, v129                               // 000000003C78: 0A5B032D
	v_mul_f32_e32 v46, v46, v130                               // 000000003C7C: 0A5D052E
	v_mul_f32_e32 v47, v47, v131                               // 000000003C80: 0A5F072F
	v_mul_f32_e64 v44, v44, s6                                 // 000000003C84: D105002C 00000D2C
	v_mul_f32_e64 v45, v45, s6                                 // 000000003C8C: D105002D 00000D2D
	v_mul_f32_e64 v46, v46, s6                                 // 000000003C94: D105002E 00000D2E
	v_mul_f32_e64 v47, v47, s6                                 // 000000003C9C: D105002F 00000D2F
	v_exp_f32_e32 v44, v44                                     // 000000003CA4: 7E58412C
	v_exp_f32_e32 v45, v45                                     // 000000003CA8: 7E5A412D
	v_exp_f32_e32 v46, v46                                     // 000000003CAC: 7E5C412E
	v_exp_f32_e32 v47, v47                                     // 000000003CB0: 7E5E412F
	buffer_load_dwordx4 a[4:7], v35, s[12:15], 0 offen         // 000000003CB4: E05C1000 80830423
	v_add_f32_e64 v44, v44, 1.0                                // 000000003CBC: D101002C 0001E52C
	v_add_f32_e64 v45, v45, 1.0                                // 000000003CC4: D101002D 0001E52D
	v_add_f32_e64 v46, v46, 1.0                                // 000000003CCC: D101002E 0001E52E
	v_add_f32_e64 v47, v47, 1.0                                // 000000003CD4: D101002F 0001E52F
	v_rcp_f32_e32 v44, v44                                     // 000000003CDC: 7E58452C
	v_rcp_f32_e32 v45, v45                                     // 000000003CE0: 7E5A452D
	v_rcp_f32_e32 v46, v46                                     // 000000003CE4: 7E5C452E
	v_rcp_f32_e32 v47, v47                                     // 000000003CE8: 7E5E452F
	v_mul_f32_e32 v128, v128, v44                              // 000000003CEC: 0B005980
	v_mul_f32_e32 v129, v129, v45                              // 000000003CF0: 0B025B81
	v_mul_f32_e32 v130, v130, v46                              // 000000003CF4: 0B045D82
	v_mul_f32_e32 v131, v131, v47                              // 000000003CF8: 0B065F83
	v_mul_f32_e32 v128, v128, v64                              // 000000003CFC: 0B008180
	v_mul_f32_e32 v129, v129, v65                              // 000000003D00: 0B028381
	v_mul_f32_e32 v130, v130, v66                              // 000000003D04: 0B048582
	v_mul_f32_e32 v131, v131, v67                              // 000000003D08: 0B068783
	buffer_load_dwordx4 a[8:11], v36, s[12:15], 0 offen        // 000000003D0C: E05C1000 80830824
	v_mul_f32_e32 v44, v132, v132                              // 000000003D14: 0A590984
	v_mul_f32_e32 v45, v133, v133                              // 000000003D18: 0A5B0B85
	v_mul_f32_e32 v46, v134, v134                              // 000000003D1C: 0A5D0D86
	v_mul_f32_e32 v47, v135, v135                              // 000000003D20: 0A5F0F87
	v_fma_f32 v44, v44, s77, v1                                // 000000003D24: D1CB002C 04049B2C
	v_fma_f32 v45, v45, s77, v1                                // 000000003D2C: D1CB002D 04049B2D
	v_fma_f32 v46, v46, s77, v1                                // 000000003D34: D1CB002E 04049B2E
	v_fma_f32 v47, v47, s77, v1                                // 000000003D3C: D1CB002F 04049B2F
	v_mul_f32_e32 v44, v44, v132                               // 000000003D44: 0A59092C
	v_mul_f32_e32 v45, v45, v133                               // 000000003D48: 0A5B0B2D
	v_mul_f32_e32 v46, v46, v134                               // 000000003D4C: 0A5D0D2E
	v_mul_f32_e32 v47, v47, v135                               // 000000003D50: 0A5F0F2F
	v_mul_f32_e64 v44, v44, s6                                 // 000000003D54: D105002C 00000D2C
	v_mul_f32_e64 v45, v45, s6                                 // 000000003D5C: D105002D 00000D2D
	v_mul_f32_e64 v46, v46, s6                                 // 000000003D64: D105002E 00000D2E
	v_mul_f32_e64 v47, v47, s6                                 // 000000003D6C: D105002F 00000D2F
	v_exp_f32_e32 v44, v44                                     // 000000003D74: 7E58412C
	v_exp_f32_e32 v45, v45                                     // 000000003D78: 7E5A412D
	v_exp_f32_e32 v46, v46                                     // 000000003D7C: 7E5C412E
	v_exp_f32_e32 v47, v47                                     // 000000003D80: 7E5E412F
	buffer_load_dwordx4 a[12:15], v37, s[12:15], 0 offen       // 000000003D84: E05C1000 80830C25
	s_add_u32 s12, s78, s12                                    // 000000003D8C: 800C0C4E
	s_addc_u32 s13, 0, s13                                     // 000000003D90: 820D0D80
	v_add_f32_e64 v44, v44, 1.0                                // 000000003D94: D101002C 0001E52C
	v_add_f32_e64 v45, v45, 1.0                                // 000000003D9C: D101002D 0001E52D
	v_add_f32_e64 v46, v46, 1.0                                // 000000003DA4: D101002E 0001E52E
	v_add_f32_e64 v47, v47, 1.0                                // 000000003DAC: D101002F 0001E52F
	v_rcp_f32_e32 v44, v44                                     // 000000003DB4: 7E58452C
	v_rcp_f32_e32 v45, v45                                     // 000000003DB8: 7E5A452D
	v_rcp_f32_e32 v46, v46                                     // 000000003DBC: 7E5C452E
	v_rcp_f32_e32 v47, v47                                     // 000000003DC0: 7E5E452F
	v_mul_f32_e32 v132, v132, v44                              // 000000003DC4: 0B085984
	v_mul_f32_e32 v133, v133, v45                              // 000000003DC8: 0B0A5B85
	v_mul_f32_e32 v134, v134, v46                              // 000000003DCC: 0B0C5D86
	v_mul_f32_e32 v135, v135, v47                              // 000000003DD0: 0B0E5F87
	v_mul_f32_e32 v132, v132, v68                              // 000000003DD4: 0B088984
	v_mul_f32_e32 v133, v133, v69                              // 000000003DD8: 0B0A8B85
	v_mul_f32_e32 v134, v134, v70                              // 000000003DDC: 0B0C8D86
	v_mul_f32_e32 v135, v135, v71                              // 000000003DE0: 0B0E8F87
	s_waitcnt vmcnt(4)                                         // 000000003DE4: BF8C0F74
	buffer_load_dwordx4 a[16:19], v34, s[12:15], 0 offen       // 000000003DE8: E05C1000 80831022
	v_mul_f32_e32 v44, v136, v136                              // 000000003DF0: 0A591188
	v_mul_f32_e32 v45, v137, v137                              // 000000003DF4: 0A5B1389
	v_mul_f32_e32 v46, v138, v138                              // 000000003DF8: 0A5D158A
	v_mul_f32_e32 v47, v139, v139                              // 000000003DFC: 0A5F178B
	v_fma_f32 v44, v44, s77, v1                                // 000000003E00: D1CB002C 04049B2C
	v_fma_f32 v45, v45, s77, v1                                // 000000003E08: D1CB002D 04049B2D
	v_fma_f32 v46, v46, s77, v1                                // 000000003E10: D1CB002E 04049B2E
	v_fma_f32 v47, v47, s77, v1                                // 000000003E18: D1CB002F 04049B2F
	v_mul_f32_e32 v44, v44, v136                               // 000000003E20: 0A59112C
	v_mul_f32_e32 v45, v45, v137                               // 000000003E24: 0A5B132D
	v_mul_f32_e32 v46, v46, v138                               // 000000003E28: 0A5D152E
	v_mul_f32_e32 v47, v47, v139                               // 000000003E2C: 0A5F172F
	v_mul_f32_e64 v44, v44, s6                                 // 000000003E30: D105002C 00000D2C
	v_mul_f32_e64 v45, v45, s6                                 // 000000003E38: D105002D 00000D2D
	v_mul_f32_e64 v46, v46, s6                                 // 000000003E40: D105002E 00000D2E
	v_mul_f32_e64 v47, v47, s6                                 // 000000003E48: D105002F 00000D2F
	v_exp_f32_e32 v44, v44                                     // 000000003E50: 7E58412C
	v_exp_f32_e32 v45, v45                                     // 000000003E54: 7E5A412D
	v_exp_f32_e32 v46, v46                                     // 000000003E58: 7E5C412E
	v_exp_f32_e32 v47, v47                                     // 000000003E5C: 7E5E412F
	buffer_load_dwordx4 a[20:23], v35, s[12:15], 0 offen       // 000000003E60: E05C1000 80831423
	v_add_f32_e64 v44, v44, 1.0                                // 000000003E68: D101002C 0001E52C
	v_add_f32_e64 v45, v45, 1.0                                // 000000003E70: D101002D 0001E52D
	v_add_f32_e64 v46, v46, 1.0                                // 000000003E78: D101002E 0001E52E
	v_add_f32_e64 v47, v47, 1.0                                // 000000003E80: D101002F 0001E52F
	v_rcp_f32_e32 v44, v44                                     // 000000003E88: 7E58452C
	v_rcp_f32_e32 v45, v45                                     // 000000003E8C: 7E5A452D
	v_rcp_f32_e32 v46, v46                                     // 000000003E90: 7E5C452E
	v_rcp_f32_e32 v47, v47                                     // 000000003E94: 7E5E452F
	v_mul_f32_e32 v136, v136, v44                              // 000000003E98: 0B105988
	v_mul_f32_e32 v137, v137, v45                              // 000000003E9C: 0B125B89
	v_mul_f32_e32 v138, v138, v46                              // 000000003EA0: 0B145D8A
	v_mul_f32_e32 v139, v139, v47                              // 000000003EA4: 0B165F8B
	v_mul_f32_e32 v136, v136, v72                              // 000000003EA8: 0B109188
	v_mul_f32_e32 v137, v137, v73                              // 000000003EAC: 0B129389
	v_mul_f32_e32 v138, v138, v74                              // 000000003EB0: 0B14958A
	v_mul_f32_e32 v139, v139, v75                              // 000000003EB4: 0B16978B
	buffer_load_dwordx4 a[24:27], v36, s[12:15], 0 offen       // 000000003EB8: E05C1000 80831824
	v_mul_f32_e32 v44, v140, v140                              // 000000003EC0: 0A59198C
	v_mul_f32_e32 v45, v141, v141                              // 000000003EC4: 0A5B1B8D
	v_mul_f32_e32 v46, v142, v142                              // 000000003EC8: 0A5D1D8E
	v_mul_f32_e32 v47, v143, v143                              // 000000003ECC: 0A5F1F8F
	v_fma_f32 v44, v44, s77, v1                                // 000000003ED0: D1CB002C 04049B2C
	v_fma_f32 v45, v45, s77, v1                                // 000000003ED8: D1CB002D 04049B2D
	v_fma_f32 v46, v46, s77, v1                                // 000000003EE0: D1CB002E 04049B2E
	v_fma_f32 v47, v47, s77, v1                                // 000000003EE8: D1CB002F 04049B2F
	v_mul_f32_e32 v44, v44, v140                               // 000000003EF0: 0A59192C
	v_mul_f32_e32 v45, v45, v141                               // 000000003EF4: 0A5B1B2D
	v_mul_f32_e32 v46, v46, v142                               // 000000003EF8: 0A5D1D2E
	v_mul_f32_e32 v47, v47, v143                               // 000000003EFC: 0A5F1F2F
	v_mul_f32_e64 v44, v44, s6                                 // 000000003F00: D105002C 00000D2C
	v_mul_f32_e64 v45, v45, s6                                 // 000000003F08: D105002D 00000D2D
	v_mul_f32_e64 v46, v46, s6                                 // 000000003F10: D105002E 00000D2E
	v_mul_f32_e64 v47, v47, s6                                 // 000000003F18: D105002F 00000D2F
	v_exp_f32_e32 v44, v44                                     // 000000003F20: 7E58412C
	v_exp_f32_e32 v45, v45                                     // 000000003F24: 7E5A412D
	v_exp_f32_e32 v46, v46                                     // 000000003F28: 7E5C412E
	v_exp_f32_e32 v47, v47                                     // 000000003F2C: 7E5E412F
	buffer_load_dwordx4 a[28:31], v37, s[12:15], 0 offen       // 000000003F30: E05C1000 80831C25
	v_add_f32_e64 v44, v44, 1.0                                // 000000003F38: D101002C 0001E52C
	v_add_f32_e64 v45, v45, 1.0                                // 000000003F40: D101002D 0001E52D
	v_add_f32_e64 v46, v46, 1.0                                // 000000003F48: D101002E 0001E52E
	v_add_f32_e64 v47, v47, 1.0                                // 000000003F50: D101002F 0001E52F
	v_rcp_f32_e32 v44, v44                                     // 000000003F58: 7E58452C
	v_rcp_f32_e32 v45, v45                                     // 000000003F5C: 7E5A452D
	v_rcp_f32_e32 v46, v46                                     // 000000003F60: 7E5C452E
	v_rcp_f32_e32 v47, v47                                     // 000000003F64: 7E5E452F
	v_mul_f32_e32 v140, v140, v44                              // 000000003F68: 0B18598C
	v_mul_f32_e32 v141, v141, v45                              // 000000003F6C: 0B1A5B8D
	v_mul_f32_e32 v142, v142, v46                              // 000000003F70: 0B1C5D8E
	v_mul_f32_e32 v143, v143, v47                              // 000000003F74: 0B1E5F8F
	v_mul_f32_e32 v140, v140, v76                              // 000000003F78: 0B18998C
	v_mul_f32_e32 v141, v141, v77                              // 000000003F7C: 0B1A9B8D
	v_mul_f32_e32 v142, v142, v78                              // 000000003F80: 0B1C9D8E
	v_mul_f32_e32 v143, v143, v79                              // 000000003F84: 0B1E9F8F
	v_lshlrev_b32_e32 v44, 2, v0                               // 000000003F88: 24580082
	s_mul_i32 s60, s82, s71                                    // 000000003F8C: 923C4752
	v_add_u32_e64 v80, v44, s60                                // 000000003F90: D1340050 0000792C
	v_mov_b32_e32 v81, 0                                       // 000000003F98: 7EA20280
	s_mul_i32 s60, s83, s71                                    // 000000003F9C: 923C4753
	v_add_u32_e64 v82, v44, s60                                // 000000003FA0: D1340052 0000792C
	v_mov_b32_e32 v83, 0                                       // 000000003FA8: 7EA60280
	s_mul_i32 s60, s84, s71                                    // 000000003FAC: 923C4754
	v_add_u32_e64 v84, v44, s60                                // 000000003FB0: D1340054 0000792C
	v_mov_b32_e32 v85, 0                                       // 000000003FB8: 7EAA0280
	s_mul_i32 s60, s85, s71                                    // 000000003FBC: 923C4755
	v_add_u32_e64 v86, v44, s60                                // 000000003FC0: D1340056 0000792C
	v_mov_b32_e32 v87, 0                                       // 000000003FC8: 7EAE0280
	s_mul_i32 s60, s86, s71                                    // 000000003FCC: 923C4756
	v_add_u32_e64 v88, v44, s60                                // 000000003FD0: D1340058 0000792C
	v_mov_b32_e32 v89, 0                                       // 000000003FD8: 7EB20280
	s_mul_i32 s60, s87, s71                                    // 000000003FDC: 923C4757
	v_add_u32_e64 v90, v44, s60                                // 000000003FE0: D134005A 0000792C
	v_mov_b32_e32 v91, 0                                       // 000000003FE8: 7EB60280
	s_mul_i32 s60, s88, s71                                    // 000000003FEC: 923C4758
	v_add_u32_e64 v92, v44, s60                                // 000000003FF0: D134005C 0000792C
	v_mov_b32_e32 v93, 0                                       // 000000003FF8: 7EBA0280
	s_mul_i32 s60, s89, s71                                    // 000000003FFC: 923C4759
	v_add_u32_e64 v94, v44, s60                                // 000000004000: D134005E 0000792C
	v_mov_b32_e32 v95, 0                                       // 000000004008: 7EBE0280
	buffer_load_dword v11, v5, s[16:19], 0 offen               // 00000000400C: E0501000 80040B05
	v_mov_b32_e32 v20, 0x358637bd                              // 000000004014: 7E2802FF 358637BD
	v_mov_b32_e32 v21, 0x358637bd                              // 00000000401C: 7E2A02FF 358637BD
	v_max3_f32 v20, |v128|, |v129|, v20                        // 000000004024: D1D30314 04530380
	v_max3_f32 v20, |v130|, |v131|, v20                        // 00000000402C: D1D30314 04530782
	v_max3_f32 v21, |v132|, |v133|, v21                        // 000000004034: D1D30315 04570B84
	v_max3_f32 v21, |v134|, |v135|, v21                        // 00000000403C: D1D30315 04570F86
	v_max3_f32 v20, |v136|, |v137|, v20                        // 000000004044: D1D30314 04531388
	v_max3_f32 v20, |v138|, |v139|, v20                        // 00000000404C: D1D30314 0453178A
	v_max3_f32 v21, |v140|, |v141|, v21                        // 000000004054: D1D30315 04571B8C
	v_max3_f32 v21, |v142|, |v143|, v21                        // 00000000405C: D1D30315 04571F8E
	v_lshlrev_b32_e32 v44, 3, v0                               // 000000004064: 24580083
	s_mul_i32 s60, 0x200, s7                                   // 000000004068: 923C07FF 00000200
	v_add_u32_e32 v44, s60, v44                                // 000000004070: 6858583C
	ds_write_b64 v44, v[20:21] offset:16640                    // 000000004074: D89A4100 0000142C
	s_waitcnt lgkmcnt(0)                                       // 00000000407C: BF8CC07F
	s_barrier                                                  // 000000004080: BF8A0000
	v_and_b32_e32 v44, 15, v0                                  // 000000004084: 2658008F
	v_lshlrev_b32_e32 v44, 3, v44                              // 000000004088: 24585883
	ds_read_b64 v[96:97], v44 offset:16640                     // 00000000408C: D8EC4100 6000002C
	ds_read_b64 v[98:99], v44 offset:16768                     // 000000004094: D8EC4180 6200002C
	ds_read_b64 v[100:101], v44 offset:16896                   // 00000000409C: D8EC4200 6400002C
	ds_read_b64 v[102:103], v44 offset:17024                   // 0000000040A4: D8EC4280 6600002C
	ds_read_b64 v[104:105], v44 offset:17152                   // 0000000040AC: D8EC4300 6800002C
	ds_read_b64 v[106:107], v44 offset:17280                   // 0000000040B4: D8EC4380 6A00002C
	ds_read_b64 v[108:109], v44 offset:17408                   // 0000000040BC: D8EC4400 6C00002C
	ds_read_b64 v[110:111], v44 offset:17536                   // 0000000040C4: D8EC4480 6E00002C
	ds_read_b64 v[112:113], v44 offset:17664                   // 0000000040CC: D8EC4500 7000002C
	ds_read_b64 v[114:115], v44 offset:17792                   // 0000000040D4: D8EC4580 7200002C
	ds_read_b64 v[116:117], v44 offset:17920                   // 0000000040DC: D8EC4600 7400002C
	ds_read_b64 v[118:119], v44 offset:18048                   // 0000000040E4: D8EC4680 7600002C
	ds_read_b64 v[120:121], v44 offset:18176                   // 0000000040EC: D8EC4700 7800002C
	ds_read_b64 v[122:123], v44 offset:18304                   // 0000000040F4: D8EC4780 7A00002C
	ds_read_b64 v[124:125], v44 offset:18432                   // 0000000040FC: D8EC4800 7C00002C
	ds_read_b64 v[126:127], v44 offset:18560                   // 000000004104: D8EC4880 7E00002C
	s_waitcnt lgkmcnt(0)                                       // 00000000410C: BF8CC07F
	v_max3_f32 v20, |v96|, |v98|, v20                          // 000000004110: D1D30314 0452C560
	v_max3_f32 v21, |v97|, |v99|, v21                          // 000000004118: D1D30315 0456C761
	v_max3_f32 v20, |v100|, |v102|, v20                        // 000000004120: D1D30314 0452CD64
	v_max3_f32 v21, |v101|, |v103|, v21                        // 000000004128: D1D30315 0456CF65
	v_max3_f32 v20, |v104|, |v106|, v20                        // 000000004130: D1D30314 0452D568
	v_max3_f32 v21, |v105|, |v107|, v21                        // 000000004138: D1D30315 0456D769
	v_max3_f32 v20, |v108|, |v110|, v20                        // 000000004140: D1D30314 0452DD6C
	v_max3_f32 v21, |v109|, |v111|, v21                        // 000000004148: D1D30315 0456DF6D
	v_max3_f32 v20, |v112|, |v114|, v20                        // 000000004150: D1D30314 0452E570
	v_max3_f32 v21, |v113|, |v115|, v21                        // 000000004158: D1D30315 0456E771
	v_max3_f32 v20, |v116|, |v118|, v20                        // 000000004160: D1D30314 0452ED74
	v_max3_f32 v21, |v117|, |v119|, v21                        // 000000004168: D1D30315 0456EF75
	v_max3_f32 v20, |v120|, |v122|, v20                        // 000000004170: D1D30314 0452F578
	v_max3_f32 v21, |v121|, |v123|, v21                        // 000000004178: D1D30315 0456F779
	v_max3_f32 v20, |v124|, |v126|, v20                        // 000000004180: D1D30314 0452FD7C
	v_max3_f32 v21, |v125|, |v127|, v21                        // 000000004188: D1D30315 0456FF7D
	v_rcp_f32_e32 v20, v20                                     // 000000004190: 7E284514
	v_rcp_f32_e32 v21, v21                                     // 000000004194: 7E2A4515
	v_mov_b32_e32 v44, 0x43700000                              // 000000004198: 7E5802FF 43700000
	v_mul_f32_e32 v20, v44, v20                                // 0000000041A0: 0A28292C
	v_mul_f32_e32 v21, v44, v21                                // 0000000041A4: 0A2A2B2C
	v_mul_f32_e32 v128, v20, v128                              // 0000000041A8: 0B010114
	v_mul_f32_e32 v129, v20, v129                              // 0000000041AC: 0B030314
	v_mul_f32_e32 v130, v20, v130                              // 0000000041B0: 0B050514
	v_mul_f32_e32 v131, v20, v131                              // 0000000041B4: 0B070714
	v_cvt_pk_fp8_f32 v128, v128, v129                          // 0000000041B8: D2A20080 00030380
	v_cvt_pk_fp8_f32 v128, v130, v131 op_sel:[0,0,1]           // 0000000041C0: D2A24080 00030782
	v_mul_f32_e32 v132, v21, v132                              // 0000000041C8: 0B090915
	v_mul_f32_e32 v133, v21, v133                              // 0000000041CC: 0B0B0B15
	v_mul_f32_e32 v134, v21, v134                              // 0000000041D0: 0B0D0D15
	v_mul_f32_e32 v135, v21, v135                              // 0000000041D4: 0B0F0F15
	v_cvt_pk_fp8_f32 v129, v132, v133                          // 0000000041D8: D2A20081 00030B84
	v_cvt_pk_fp8_f32 v129, v134, v135 op_sel:[0,0,1]           // 0000000041E0: D2A24081 00030F86
	v_mul_f32_e32 v136, v20, v136                              // 0000000041E8: 0B111114
	v_mul_f32_e32 v137, v20, v137                              // 0000000041EC: 0B131314
	v_mul_f32_e32 v138, v20, v138                              // 0000000041F0: 0B151514
	v_mul_f32_e32 v139, v20, v139                              // 0000000041F4: 0B171714
	v_cvt_pk_fp8_f32 v130, v136, v137                          // 0000000041F8: D2A20082 00031388
	v_cvt_pk_fp8_f32 v130, v138, v139 op_sel:[0,0,1]           // 000000004200: D2A24082 0003178A
	v_mul_f32_e32 v140, v21, v140                              // 000000004208: 0B191915
	v_mul_f32_e32 v141, v21, v141                              // 00000000420C: 0B1B1B15
	v_mul_f32_e32 v142, v21, v142                              // 000000004210: 0B1D1D15
	v_mul_f32_e32 v143, v21, v143                              // 000000004214: 0B1F1F15
	v_cvt_pk_fp8_f32 v131, v140, v141                          // 000000004218: D2A20083 00031B8C
	v_cvt_pk_fp8_f32 v131, v142, v143 op_sel:[0,0,1]           // 000000004220: D2A24083 00031F8E
	v_rcp_f32_e32 v22, v20                                     // 000000004228: 7E2C4514
	v_rcp_f32_e32 v23, v21                                     // 00000000422C: 7E2E4515
	v_lshrrev_b32_e32 v44, 5, v0                               // 000000004230: 20580085
	v_lshlrev_b32_e32 v45, 5, v44                              // 000000004234: 245A5885
	v_and_b32_e32 v44, 31, v0                                  // 000000004238: 2658009F
	v_lshrrev_b32_e32 v46, 4, v44                              // 00000000423C: 205C5884
	v_add_u32_e32 v45, v46, v45                                // 000000004240: 685A5B2E
	v_and_b32_e32 v44, 15, v0                                  // 000000004244: 2658008F
	v_lshlrev_b32_e32 v44, 1, v44                              // 000000004248: 24585881
	v_add_u32_e32 v45, v44, v45                                // 00000000424C: 685A5B2C
	v_lshlrev_b32_e32 v44, 2, v45                              // 000000004250: 24585A82
	s_mul_i32 s60, 0x100, s7                                   // 000000004254: 923C07FF 00000100
	v_add_u32_e64 v44, v44, s60                                // 00000000425C: D134002C 0000792C
	ds_write_b32 v44, v128 offset:18688                        // 000000004264: D81A4900 0000802C
	ds_write_b32 v44, v129 offset:20736                        // 00000000426C: D81A5100 0000812C
	ds_write_b32 v44, v130 offset:19712                        // 000000004274: D81A4D00 0000822C
	ds_write_b32 v44, v131 offset:21760                        // 00000000427C: D81A5500 0000832C
	s_waitcnt lgkmcnt(0)                                       // 000000004284: BF8CC07F
	s_barrier                                                  // 000000004288: BF8A0000
	v_lshrrev_b32_e32 v44, 4, v0                               // 00000000428C: 20580084
	v_lshlrev_b32_e32 v45, 6, v44                              // 000000004290: 245A5886
	v_and_b32_e32 v44, 15, v0                                  // 000000004294: 2658008F
	v_lshlrev_b32_e32 v44, 1, v44                              // 000000004298: 24585881
	v_add_u32_e32 v45, v44, v45                                // 00000000429C: 685A5B2C
	v_lshlrev_b32_e32 v44, 2, v45                              // 0000000042A0: 24585A82
	ds_read_b64 v[128:129], v44 offset:18688                   // 0000000042A4: D8EC4900 8000002C
	ds_read_b64 v[130:131], v44 offset:18816                   // 0000000042AC: D8EC4980 8200002C
	ds_read_b64 v[132:133], v44 offset:19712                   // 0000000042B4: D8EC4D00 8400002C
	ds_read_b64 v[134:135], v44 offset:19840                   // 0000000042BC: D8EC4D80 8600002C
	ds_read_b64 v[136:137], v44 offset:20736                   // 0000000042C4: D8EC5100 8800002C
	ds_read_b64 v[138:139], v44 offset:20864                   // 0000000042CC: D8EC5180 8A00002C
	ds_read_b64 v[140:141], v44 offset:21760                   // 0000000042D4: D8EC5500 8C00002C
	ds_read_b64 v[142:143], v44 offset:21888                   // 0000000042DC: D8EC5580 8E00002C
	s_add_u32 s12, s56, s12                                    // 0000000042E4: 800C0C38
	s_addc_u32 s13, 0, s13                                     // 0000000042E8: 820D0D80
	s_add_u32 s16, s79, s16                                    // 0000000042EC: 8010104F
	s_addc_u32 s17, 0, s17                                     // 0000000042F0: 82111180
	s_mov_b32 s80, 0                                           // 0000000042F4: BED00080
	s_waitcnt vmcnt(0) expcnt(0) lgkmcnt(0)                    // 0000000042F8: BF8C0000

00000000000042fc <label_05FF>:
	s_waitcnt vmcnt(21)                                        // 0000000042FC: BF8C4F75
	s_barrier                                                  // 000000004300: BF8A0000
	v_mfma_f32_16x16x32_fp8_fp8 v[144:147], a[0:1], v[128:129], 0// 000000004304: D3F30090 0A030100
	v_mfma_f32_16x16x32_fp8_fp8 v[144:147], a[2:3], v[130:131], v[144:147]// 00000000430C: D3F30090 0E430502
	buffer_load_dwordx4 a[32:35], v34, s[12:15], 0 offen       // 000000004314: E05C1000 80832022
	v_mfma_f32_16x16x32_fp8_fp8 v[148:151], a[0:1], v[136:137], 0// 00000000431C: D3F30094 0A031100
	v_mfma_f32_16x16x32_fp8_fp8 v[148:151], a[2:3], v[138:139], v[148:151]// 000000004324: D3F30094 0E531502
	v_mfma_f32_16x16x32_fp8_fp8 v[152:155], a[4:5], v[128:129], 0// 00000000432C: D3F30098 0A030104
	v_mfma_f32_16x16x32_fp8_fp8 v[152:155], a[6:7], v[130:131], v[152:155]// 000000004334: D3F30098 0E630506
	buffer_load_dwordx4 a[36:39], v35, s[12:15], 0 offen       // 00000000433C: E05C1000 80832423
	v_mfma_f32_16x16x32_fp8_fp8 v[156:159], a[4:5], v[136:137], 0// 000000004344: D3F3009C 0A031104
	v_mfma_f32_16x16x32_fp8_fp8 v[156:159], a[6:7], v[138:139], v[156:159]// 00000000434C: D3F3009C 0E731506
	v_mfma_f32_16x16x32_fp8_fp8 v[160:163], a[8:9], v[128:129], 0// 000000004354: D3F300A0 0A030108
	v_mfma_f32_16x16x32_fp8_fp8 v[160:163], a[10:11], v[130:131], v[160:163]// 00000000435C: D3F300A0 0E83050A
	buffer_load_dwordx4 a[40:43], v36, s[12:15], 0 offen       // 000000004364: E05C1000 80832824
	v_mfma_f32_16x16x32_fp8_fp8 v[164:167], a[8:9], v[136:137], 0// 00000000436C: D3F300A4 0A031108
	v_mfma_f32_16x16x32_fp8_fp8 v[164:167], a[10:11], v[138:139], v[164:167]// 000000004374: D3F300A4 0E93150A
	v_mfma_f32_16x16x32_fp8_fp8 v[168:171], a[12:13], v[128:129], 0// 00000000437C: D3F300A8 0A03010C
	v_mfma_f32_16x16x32_fp8_fp8 v[168:171], a[14:15], v[130:131], v[168:171]// 000000004384: D3F300A8 0EA3050E
	buffer_load_dwordx4 a[44:47], v37, s[12:15], 0 offen       // 00000000438C: E05C1000 80832C25
	s_add_u32 s12, s78, s12                                    // 000000004394: 800C0C4E
	s_addc_u32 s13, 0, s13                                     // 000000004398: 820D0D80
	v_mfma_f32_16x16x32_fp8_fp8 v[172:175], a[12:13], v[136:137], 0// 00000000439C: D3F300AC 0A03110C
	v_mfma_f32_16x16x32_fp8_fp8 v[172:175], a[14:15], v[138:139], v[172:175]// 0000000043A4: D3F300AC 0EB3150E
	s_waitcnt vmcnt(20)                                        // 0000000043AC: BF8C4F74
	v_mfma_f32_16x16x32_fp8_fp8 v[144:147], a[16:17], v[132:133], v[144:147]// 0000000043B0: D3F30090 0E430910
	v_mfma_f32_16x16x32_fp8_fp8 v[144:147], a[18:19], v[134:135], v[144:147]// 0000000043B8: D3F30090 0E430D12
	buffer_load_dwordx4 a[48:51], v34, s[12:15], 0 offen       // 0000000043C0: E05C1000 80833022
	v_mfma_f32_16x16x32_fp8_fp8 v[148:151], a[16:17], v[140:141], v[148:151]// 0000000043C8: D3F30094 0E531910
	v_mfma_f32_16x16x32_fp8_fp8 v[148:151], a[18:19], v[142:143], v[148:151]// 0000000043D0: D3F30094 0E531D12
	buffer_load_dword v12, v5, s[16:19], 0 offen               // 0000000043D8: E0501000 80040C05
	v_mfma_f32_16x16x32_fp8_fp8 v[152:155], a[20:21], v[132:133], v[152:155]// 0000000043E0: D3F30098 0E630914
	v_mfma_f32_16x16x32_fp8_fp8 v[152:155], a[22:23], v[134:135], v[152:155]// 0000000043E8: D3F30098 0E630D16
	buffer_load_dwordx4 a[52:55], v35, s[12:15], 0 offen       // 0000000043F0: E05C1000 80833423
	v_mfma_f32_16x16x32_fp8_fp8 v[156:159], a[20:21], v[140:141], v[156:159]// 0000000043F8: D3F3009C 0E731914
	v_mfma_f32_16x16x32_fp8_fp8 v[156:159], a[22:23], v[142:143], v[156:159]// 000000004400: D3F3009C 0E731D16
	v_mfma_f32_16x16x32_fp8_fp8 v[160:163], a[24:25], v[132:133], v[160:163]// 000000004408: D3F300A0 0E830918
	v_mfma_f32_16x16x32_fp8_fp8 v[160:163], a[26:27], v[134:135], v[160:163]// 000000004410: D3F300A0 0E830D1A
	buffer_load_dwordx4 a[56:59], v36, s[12:15], 0 offen       // 000000004418: E05C1000 80833824
	v_mfma_f32_16x16x32_fp8_fp8 v[164:167], a[24:25], v[140:141], v[164:167]// 000000004420: D3F300A4 0E931918
	v_mfma_f32_16x16x32_fp8_fp8 v[164:167], a[26:27], v[142:143], v[164:167]// 000000004428: D3F300A4 0E931D1A
	v_mfma_f32_16x16x32_fp8_fp8 v[168:171], a[28:29], v[132:133], v[168:171]// 000000004430: D3F300A8 0EA3091C
	v_mfma_f32_16x16x32_fp8_fp8 v[168:171], a[30:31], v[134:135], v[168:171]// 000000004438: D3F300A8 0EA30D1E
	buffer_load_dwordx4 a[60:63], v37, s[12:15], 0 offen       // 000000004440: E05C1000 80833C25
	v_mfma_f32_16x16x32_fp8_fp8 v[172:175], a[28:29], v[140:141], v[172:175]// 000000004448: D3F300AC 0EB3191C
	v_mfma_f32_16x16x32_fp8_fp8 v[172:175], a[30:31], v[142:143], v[172:175]// 000000004450: D3F300AC 0EB31D1E
	s_add_u32 s60, 0x200, s80                                  // 000000004458: 803C50FF 00000200
	s_cmp_lt_u32 s60, s81                                      // 000000004460: BF0A513C
	s_cselect_b32 s56, s56, 0                                  // 000000004464: 85388038
	s_cselect_b32 s78, s78, 0                                  // 000000004468: 854E804E
	s_cselect_b32 s79, s79, 0                                  // 00000000446C: 854F804F
	s_add_u32 s12, s56, s12                                    // 000000004470: 800C0C38
	s_addc_u32 s13, 0, s13                                     // 000000004474: 820D0D80
	s_add_u32 s16, s79, s16                                    // 000000004478: 8010104F
	s_addc_u32 s17, 0, s17                                     // 00000000447C: 82111180
	v_mul_f32_e32 v144, v22, v144                              // 000000004480: 0B212116
	v_mul_f32_e32 v145, v22, v145                              // 000000004484: 0B232316
	v_mul_f32_e32 v146, v22, v146                              // 000000004488: 0B252516
	v_mul_f32_e32 v147, v22, v147                              // 00000000448C: 0B272716
	v_mul_f32_dpp v144, v11, v144 row_newbcast:0 row_mask:0xf bank_mask:0xf// 000000004490: 0B2120FA FF01500B
	v_mul_f32_dpp v145, v11, v145 row_newbcast:1 row_mask:0xf bank_mask:0xf// 000000004498: 0B2322FA FF01510B
	v_mul_f32_dpp v146, v11, v146 row_newbcast:2 row_mask:0xf bank_mask:0xf// 0000000044A0: 0B2524FA FF01520B
	v_mul_f32_dpp v147, v11, v147 row_newbcast:3 row_mask:0xf bank_mask:0xf// 0000000044A8: 0B2726FA FF01530B
	v_mul_f32_e32 v144, v17, v144                              // 0000000044B0: 0B212111
	v_mul_f32_e32 v145, v17, v145                              // 0000000044B4: 0B232311
	v_mul_f32_e32 v146, v17, v146                              // 0000000044B8: 0B252511
	v_mul_f32_e32 v147, v17, v147                              // 0000000044BC: 0B272711
	v_mul_f32_e32 v148, v23, v148                              // 0000000044C0: 0B292917
	v_mul_f32_e32 v149, v23, v149                              // 0000000044C4: 0B2B2B17
	v_mul_f32_e32 v150, v23, v150                              // 0000000044C8: 0B2D2D17
	v_mul_f32_e32 v151, v23, v151                              // 0000000044CC: 0B2F2F17
	v_mul_f32_dpp v148, v11, v148 row_newbcast:0 row_mask:0xf bank_mask:0xf// 0000000044D0: 0B2928FA FF01500B
	v_mul_f32_dpp v149, v11, v149 row_newbcast:1 row_mask:0xf bank_mask:0xf// 0000000044D8: 0B2B2AFA FF01510B
	v_mul_f32_dpp v150, v11, v150 row_newbcast:2 row_mask:0xf bank_mask:0xf// 0000000044E0: 0B2D2CFA FF01520B
	v_mul_f32_dpp v151, v11, v151 row_newbcast:3 row_mask:0xf bank_mask:0xf// 0000000044E8: 0B2F2EFA FF01530B
	v_mul_f32_e32 v148, v18, v148                              // 0000000044F0: 0B292912
	v_mul_f32_e32 v149, v18, v149                              // 0000000044F4: 0B2B2B12
	v_mul_f32_e32 v150, v18, v150                              // 0000000044F8: 0B2D2D12
	v_mul_f32_e32 v151, v18, v151                              // 0000000044FC: 0B2F2F12
	v_mul_f32_e32 v152, v22, v152                              // 000000004500: 0B313116
	v_mul_f32_e32 v153, v22, v153                              // 000000004504: 0B333316
	v_mul_f32_e32 v154, v22, v154                              // 000000004508: 0B353516
	v_mul_f32_e32 v155, v22, v155                              // 00000000450C: 0B373716
	v_mul_f32_dpp v152, v11, v152 row_newbcast:4 row_mask:0xf bank_mask:0xf// 000000004510: 0B3130FA FF01540B
	v_mul_f32_dpp v153, v11, v153 row_newbcast:5 row_mask:0xf bank_mask:0xf// 000000004518: 0B3332FA FF01550B
	v_mul_f32_dpp v154, v11, v154 row_newbcast:6 row_mask:0xf bank_mask:0xf// 000000004520: 0B3534FA FF01560B
	v_mul_f32_dpp v155, v11, v155 row_newbcast:7 row_mask:0xf bank_mask:0xf// 000000004528: 0B3736FA FF01570B
	v_mul_f32_e32 v152, v17, v152                              // 000000004530: 0B313111
	v_mul_f32_e32 v153, v17, v153                              // 000000004534: 0B333311
	v_mul_f32_e32 v154, v17, v154                              // 000000004538: 0B353511
	v_mul_f32_e32 v155, v17, v155                              // 00000000453C: 0B373711
	v_mul_f32_e32 v156, v23, v156                              // 000000004540: 0B393917
	v_mul_f32_e32 v157, v23, v157                              // 000000004544: 0B3B3B17
	v_mul_f32_e32 v158, v23, v158                              // 000000004548: 0B3D3D17
	v_mul_f32_e32 v159, v23, v159                              // 00000000454C: 0B3F3F17
	v_mul_f32_dpp v156, v11, v156 row_newbcast:4 row_mask:0xf bank_mask:0xf// 000000004550: 0B3938FA FF01540B
	v_mul_f32_dpp v157, v11, v157 row_newbcast:5 row_mask:0xf bank_mask:0xf// 000000004558: 0B3B3AFA FF01550B
	v_mul_f32_dpp v158, v11, v158 row_newbcast:6 row_mask:0xf bank_mask:0xf// 000000004560: 0B3D3CFA FF01560B
	v_mul_f32_dpp v159, v11, v159 row_newbcast:7 row_mask:0xf bank_mask:0xf// 000000004568: 0B3F3EFA FF01570B
	v_mul_f32_e32 v156, v18, v156                              // 000000004570: 0B393912
	v_mul_f32_e32 v157, v18, v157                              // 000000004574: 0B3B3B12
	v_mul_f32_e32 v158, v18, v158                              // 000000004578: 0B3D3D12
	v_mul_f32_e32 v159, v18, v159                              // 00000000457C: 0B3F3F12
	v_mul_f32_e32 v160, v22, v160                              // 000000004580: 0B414116
	v_mul_f32_e32 v161, v22, v161                              // 000000004584: 0B434316
	v_mul_f32_e32 v162, v22, v162                              // 000000004588: 0B454516
	v_mul_f32_e32 v163, v22, v163                              // 00000000458C: 0B474716
	v_mul_f32_dpp v160, v11, v160 row_newbcast:8 row_mask:0xf bank_mask:0xf// 000000004590: 0B4140FA FF01580B
	v_mul_f32_dpp v161, v11, v161 row_newbcast:9 row_mask:0xf bank_mask:0xf// 000000004598: 0B4342FA FF01590B
	v_mul_f32_dpp v162, v11, v162 row_newbcast:10 row_mask:0xf bank_mask:0xf// 0000000045A0: 0B4544FA FF015A0B
	v_mul_f32_dpp v163, v11, v163 row_newbcast:11 row_mask:0xf bank_mask:0xf// 0000000045A8: 0B4746FA FF015B0B
	v_mul_f32_e32 v160, v17, v160                              // 0000000045B0: 0B414111
	v_mul_f32_e32 v161, v17, v161                              // 0000000045B4: 0B434311
	v_mul_f32_e32 v162, v17, v162                              // 0000000045B8: 0B454511
	v_mul_f32_e32 v163, v17, v163                              // 0000000045BC: 0B474711
	v_mul_f32_e32 v164, v23, v164                              // 0000000045C0: 0B494917
	v_mul_f32_e32 v165, v23, v165                              // 0000000045C4: 0B4B4B17
	v_mul_f32_e32 v166, v23, v166                              // 0000000045C8: 0B4D4D17
	v_mul_f32_e32 v167, v23, v167                              // 0000000045CC: 0B4F4F17
	v_mul_f32_dpp v164, v11, v164 row_newbcast:8 row_mask:0xf bank_mask:0xf// 0000000045D0: 0B4948FA FF01580B
	v_mul_f32_dpp v165, v11, v165 row_newbcast:9 row_mask:0xf bank_mask:0xf// 0000000045D8: 0B4B4AFA FF01590B
	v_mul_f32_dpp v166, v11, v166 row_newbcast:10 row_mask:0xf bank_mask:0xf// 0000000045E0: 0B4D4CFA FF015A0B
	v_mul_f32_dpp v167, v11, v167 row_newbcast:11 row_mask:0xf bank_mask:0xf// 0000000045E8: 0B4F4EFA FF015B0B
	v_mul_f32_e32 v164, v18, v164                              // 0000000045F0: 0B494912
	v_mul_f32_e32 v165, v18, v165                              // 0000000045F4: 0B4B4B12
	v_mul_f32_e32 v166, v18, v166                              // 0000000045F8: 0B4D4D12
	v_mul_f32_e32 v167, v18, v167                              // 0000000045FC: 0B4F4F12
	v_mul_f32_e32 v168, v22, v168                              // 000000004600: 0B515116
	v_mul_f32_e32 v169, v22, v169                              // 000000004604: 0B535316
	v_mul_f32_e32 v170, v22, v170                              // 000000004608: 0B555516
	v_mul_f32_e32 v171, v22, v171                              // 00000000460C: 0B575716
	v_mul_f32_dpp v168, v11, v168 row_newbcast:12 row_mask:0xf bank_mask:0xf// 000000004610: 0B5150FA FF015C0B
	v_mul_f32_dpp v169, v11, v169 row_newbcast:13 row_mask:0xf bank_mask:0xf// 000000004618: 0B5352FA FF015D0B
	v_mul_f32_dpp v170, v11, v170 row_newbcast:14 row_mask:0xf bank_mask:0xf// 000000004620: 0B5554FA FF015E0B
	v_mul_f32_dpp v171, v11, v171 row_newbcast:15 row_mask:0xf bank_mask:0xf// 000000004628: 0B5756FA FF015F0B
	v_mul_f32_e32 v168, v17, v168                              // 000000004630: 0B515111
	v_mul_f32_e32 v169, v17, v169                              // 000000004634: 0B535311
	v_mul_f32_e32 v170, v17, v170                              // 000000004638: 0B555511
	v_mul_f32_e32 v171, v17, v171                              // 00000000463C: 0B575711
	v_mul_f32_e32 v172, v23, v172                              // 000000004640: 0B595917
	v_mul_f32_e32 v173, v23, v173                              // 000000004644: 0B5B5B17
	v_mul_f32_e32 v174, v23, v174                              // 000000004648: 0B5D5D17
	v_mul_f32_e32 v175, v23, v175                              // 00000000464C: 0B5F5F17
	v_mul_f32_dpp v172, v11, v172 row_newbcast:12 row_mask:0xf bank_mask:0xf// 000000004650: 0B5958FA FF015C0B
	v_mul_f32_dpp v173, v11, v173 row_newbcast:13 row_mask:0xf bank_mask:0xf// 000000004658: 0B5B5AFA FF015D0B
	v_mul_f32_dpp v174, v11, v174 row_newbcast:14 row_mask:0xf bank_mask:0xf// 000000004660: 0B5D5CFA FF015E0B
	v_mul_f32_dpp v175, v11, v175 row_newbcast:15 row_mask:0xf bank_mask:0xf// 000000004668: 0B5F5EFA FF015F0B
	v_mul_f32_e32 v172, v18, v172                              // 000000004670: 0B595912
	v_mul_f32_e32 v173, v18, v173                              // 000000004674: 0B5B5B12
	v_mul_f32_e32 v174, v18, v174                              // 000000004678: 0B5D5D12
	v_mul_f32_e32 v175, v18, v175                              // 00000000467C: 0B5F5F12
	v_cmp_u_f32_e64 s[48:49], v144, v144                       // 000000004680: D0480030 00032190
	v_add3_u32 v38, v144, v41, 1                               // 000000004688: D1FF0026 02065390
	v_cndmask_b32_e64 v44, v38, v40, s[48:49]                  // 000000004690: D100002C 00C25126
	v_cmp_u_f32_e64 s[48:49], v145, v145                       // 000000004698: D0480030 00032391
	v_add3_u32 v38, v145, v41, 1                               // 0000000046A0: D1FF0026 02065391
	v_cndmask_b32_e64 v45, v38, v40, s[48:49]                  // 0000000046A8: D100002D 00C25126
	v_perm_b32 v144, v45, v44, s52                             // 0000000046B0: D1ED0090 00D2592D
	v_cmp_u_f32_e64 s[48:49], v146, v146                       // 0000000046B8: D0480030 00032592
	v_add3_u32 v38, v146, v41, 1                               // 0000000046C0: D1FF0026 02065392
	v_cndmask_b32_e64 v44, v38, v40, s[48:49]                  // 0000000046C8: D100002C 00C25126
	v_cmp_u_f32_e64 s[48:49], v147, v147                       // 0000000046D0: D0480030 00032793
	v_add3_u32 v38, v147, v41, 1                               // 0000000046D8: D1FF0026 02065393
	v_cndmask_b32_e64 v45, v38, v40, s[48:49]                  // 0000000046E0: D100002D 00C25126
	v_perm_b32 v145, v45, v44, s52                             // 0000000046E8: D1ED0091 00D2592D
	v_cmp_u_f32_e64 s[48:49], v148, v148                       // 0000000046F0: D0480030 00032994
	v_add3_u32 v38, v148, v41, 1                               // 0000000046F8: D1FF0026 02065394
	v_cndmask_b32_e64 v44, v38, v40, s[48:49]                  // 000000004700: D100002C 00C25126
	v_cmp_u_f32_e64 s[48:49], v149, v149                       // 000000004708: D0480030 00032B95
	v_add3_u32 v38, v149, v41, 1                               // 000000004710: D1FF0026 02065395
	v_cndmask_b32_e64 v45, v38, v40, s[48:49]                  // 000000004718: D100002D 00C25126
	v_perm_b32 v146, v45, v44, s52                             // 000000004720: D1ED0092 00D2592D
	v_cmp_u_f32_e64 s[48:49], v150, v150                       // 000000004728: D0480030 00032D96
	v_add3_u32 v38, v150, v41, 1                               // 000000004730: D1FF0026 02065396
	v_cndmask_b32_e64 v44, v38, v40, s[48:49]                  // 000000004738: D100002C 00C25126
	v_cmp_u_f32_e64 s[48:49], v151, v151                       // 000000004740: D0480030 00032F97
	v_add3_u32 v38, v151, v41, 1                               // 000000004748: D1FF0026 02065397
	v_cndmask_b32_e64 v45, v38, v40, s[48:49]                  // 000000004750: D100002D 00C25126
	v_perm_b32 v147, v45, v44, s52                             // 000000004758: D1ED0093 00D2592D
	v_cmp_u_f32_e64 s[48:49], v152, v152                       // 000000004760: D0480030 00033198
	v_add3_u32 v38, v152, v41, 1                               // 000000004768: D1FF0026 02065398
	v_cndmask_b32_e64 v44, v38, v40, s[48:49]                  // 000000004770: D100002C 00C25126
	v_cmp_u_f32_e64 s[48:49], v153, v153                       // 000000004778: D0480030 00033399
	v_add3_u32 v38, v153, v41, 1                               // 000000004780: D1FF0026 02065399
	v_cndmask_b32_e64 v45, v38, v40, s[48:49]                  // 000000004788: D100002D 00C25126
	v_perm_b32 v148, v45, v44, s52                             // 000000004790: D1ED0094 00D2592D
	v_cmp_u_f32_e64 s[48:49], v154, v154                       // 000000004798: D0480030 0003359A
	v_add3_u32 v38, v154, v41, 1                               // 0000000047A0: D1FF0026 0206539A
	v_cndmask_b32_e64 v44, v38, v40, s[48:49]                  // 0000000047A8: D100002C 00C25126
	v_cmp_u_f32_e64 s[48:49], v155, v155                       // 0000000047B0: D0480030 0003379B
	v_add3_u32 v38, v155, v41, 1                               // 0000000047B8: D1FF0026 0206539B
	v_cndmask_b32_e64 v45, v38, v40, s[48:49]                  // 0000000047C0: D100002D 00C25126
	v_perm_b32 v149, v45, v44, s52                             // 0000000047C8: D1ED0095 00D2592D
	v_cmp_u_f32_e64 s[48:49], v156, v156                       // 0000000047D0: D0480030 0003399C
	v_add3_u32 v38, v156, v41, 1                               // 0000000047D8: D1FF0026 0206539C
	v_cndmask_b32_e64 v44, v38, v40, s[48:49]                  // 0000000047E0: D100002C 00C25126
	v_cmp_u_f32_e64 s[48:49], v157, v157                       // 0000000047E8: D0480030 00033B9D
	v_add3_u32 v38, v157, v41, 1                               // 0000000047F0: D1FF0026 0206539D
	v_cndmask_b32_e64 v45, v38, v40, s[48:49]                  // 0000000047F8: D100002D 00C25126
	v_perm_b32 v150, v45, v44, s52                             // 000000004800: D1ED0096 00D2592D
	v_cmp_u_f32_e64 s[48:49], v158, v158                       // 000000004808: D0480030 00033D9E
	v_add3_u32 v38, v158, v41, 1                               // 000000004810: D1FF0026 0206539E
	v_cndmask_b32_e64 v44, v38, v40, s[48:49]                  // 000000004818: D100002C 00C25126
	v_cmp_u_f32_e64 s[48:49], v159, v159                       // 000000004820: D0480030 00033F9F
	v_add3_u32 v38, v159, v41, 1                               // 000000004828: D1FF0026 0206539F
	v_cndmask_b32_e64 v45, v38, v40, s[48:49]                  // 000000004830: D100002D 00C25126
	v_perm_b32 v151, v45, v44, s52                             // 000000004838: D1ED0097 00D2592D
	v_cmp_u_f32_e64 s[48:49], v160, v160                       // 000000004840: D0480030 000341A0
	v_add3_u32 v38, v160, v41, 1                               // 000000004848: D1FF0026 020653A0
	v_cndmask_b32_e64 v44, v38, v40, s[48:49]                  // 000000004850: D100002C 00C25126
	v_cmp_u_f32_e64 s[48:49], v161, v161                       // 000000004858: D0480030 000343A1
	v_add3_u32 v38, v161, v41, 1                               // 000000004860: D1FF0026 020653A1
	v_cndmask_b32_e64 v45, v38, v40, s[48:49]                  // 000000004868: D100002D 00C25126
	v_perm_b32 v152, v45, v44, s52                             // 000000004870: D1ED0098 00D2592D
	v_cmp_u_f32_e64 s[48:49], v162, v162                       // 000000004878: D0480030 000345A2
	v_add3_u32 v38, v162, v41, 1                               // 000000004880: D1FF0026 020653A2
	v_cndmask_b32_e64 v44, v38, v40, s[48:49]                  // 000000004888: D100002C 00C25126
	v_cmp_u_f32_e64 s[48:49], v163, v163                       // 000000004890: D0480030 000347A3
	v_add3_u32 v38, v163, v41, 1                               // 000000004898: D1FF0026 020653A3
	v_cndmask_b32_e64 v45, v38, v40, s[48:49]                  // 0000000048A0: D100002D 00C25126
	v_perm_b32 v153, v45, v44, s52                             // 0000000048A8: D1ED0099 00D2592D
	v_cmp_u_f32_e64 s[48:49], v164, v164                       // 0000000048B0: D0480030 000349A4
	v_add3_u32 v38, v164, v41, 1                               // 0000000048B8: D1FF0026 020653A4
	v_cndmask_b32_e64 v44, v38, v40, s[48:49]                  // 0000000048C0: D100002C 00C25126
	v_cmp_u_f32_e64 s[48:49], v165, v165                       // 0000000048C8: D0480030 00034BA5
	v_add3_u32 v38, v165, v41, 1                               // 0000000048D0: D1FF0026 020653A5
	v_cndmask_b32_e64 v45, v38, v40, s[48:49]                  // 0000000048D8: D100002D 00C25126
	v_perm_b32 v154, v45, v44, s52                             // 0000000048E0: D1ED009A 00D2592D
	v_cmp_u_f32_e64 s[48:49], v166, v166                       // 0000000048E8: D0480030 00034DA6
	v_add3_u32 v38, v166, v41, 1                               // 0000000048F0: D1FF0026 020653A6
	v_cndmask_b32_e64 v44, v38, v40, s[48:49]                  // 0000000048F8: D100002C 00C25126
	v_cmp_u_f32_e64 s[48:49], v167, v167                       // 000000004900: D0480030 00034FA7
	v_add3_u32 v38, v167, v41, 1                               // 000000004908: D1FF0026 020653A7
	v_cndmask_b32_e64 v45, v38, v40, s[48:49]                  // 000000004910: D100002D 00C25126
	v_perm_b32 v155, v45, v44, s52                             // 000000004918: D1ED009B 00D2592D
	v_cmp_u_f32_e64 s[48:49], v168, v168                       // 000000004920: D0480030 000351A8
	v_add3_u32 v38, v168, v41, 1                               // 000000004928: D1FF0026 020653A8
	v_cndmask_b32_e64 v44, v38, v40, s[48:49]                  // 000000004930: D100002C 00C25126
	v_cmp_u_f32_e64 s[48:49], v169, v169                       // 000000004938: D0480030 000353A9
	v_add3_u32 v38, v169, v41, 1                               // 000000004940: D1FF0026 020653A9
	v_cndmask_b32_e64 v45, v38, v40, s[48:49]                  // 000000004948: D100002D 00C25126
	v_perm_b32 v156, v45, v44, s52                             // 000000004950: D1ED009C 00D2592D
	v_cmp_u_f32_e64 s[48:49], v170, v170                       // 000000004958: D0480030 000355AA
	v_add3_u32 v38, v170, v41, 1                               // 000000004960: D1FF0026 020653AA
	v_cndmask_b32_e64 v44, v38, v40, s[48:49]                  // 000000004968: D100002C 00C25126
	v_cmp_u_f32_e64 s[48:49], v171, v171                       // 000000004970: D0480030 000357AB
	v_add3_u32 v38, v171, v41, 1                               // 000000004978: D1FF0026 020653AB
	v_cndmask_b32_e64 v45, v38, v40, s[48:49]                  // 000000004980: D100002D 00C25126
	v_perm_b32 v157, v45, v44, s52                             // 000000004988: D1ED009D 00D2592D
	v_cmp_u_f32_e64 s[48:49], v172, v172                       // 000000004990: D0480030 000359AC
	v_add3_u32 v38, v172, v41, 1                               // 000000004998: D1FF0026 020653AC
	v_cndmask_b32_e64 v44, v38, v40, s[48:49]                  // 0000000049A0: D100002C 00C25126
	v_cmp_u_f32_e64 s[48:49], v173, v173                       // 0000000049A8: D0480030 00035BAD
	v_add3_u32 v38, v173, v41, 1                               // 0000000049B0: D1FF0026 020653AD
	v_cndmask_b32_e64 v45, v38, v40, s[48:49]                  // 0000000049B8: D100002D 00C25126
	v_perm_b32 v158, v45, v44, s52                             // 0000000049C0: D1ED009E 00D2592D
	v_cmp_u_f32_e64 s[48:49], v174, v174                       // 0000000049C8: D0480030 00035DAE
	v_add3_u32 v38, v174, v41, 1                               // 0000000049D0: D1FF0026 020653AE
	v_cndmask_b32_e64 v44, v38, v40, s[48:49]                  // 0000000049D8: D100002C 00C25126
	v_cmp_u_f32_e64 s[48:49], v175, v175                       // 0000000049E0: D0480030 00035FAF
	v_add3_u32 v38, v175, v41, 1                               // 0000000049E8: D1FF0026 020653AF
	v_cndmask_b32_e64 v45, v38, v40, s[48:49]                  // 0000000049F0: D100002D 00C25126
	v_perm_b32 v159, v45, v44, s52                             // 0000000049F8: D1ED009F 00D2592D
	ds_write_b64 v3, v[144:145] offset:22784                   // 000000004A00: D89A5900 00009003
	ds_write_b64 v3, v[146:147] offset:31488                   // 000000004A08: D89A7B00 00009203
	ds_write_b64 v3, v[148:149] offset:24960                   // 000000004A10: D89A6180 00009403
	ds_write_b64 v3, v[150:151] offset:33664                   // 000000004A18: D89A8380 00009603
	ds_write_b64 v3, v[152:153] offset:27136                   // 000000004A20: D89A6A00 00009803
	ds_write_b64 v3, v[154:155] offset:35840                   // 000000004A28: D89A8C00 00009A03
	ds_write_b64 v3, v[156:157] offset:29312                   // 000000004A30: D89A7280 00009C03
	ds_write_b64 v3, v[158:159] offset:38016                   // 000000004A38: D89A9480 00009E03
	s_waitcnt lgkmcnt(0)                                       // 000000004A40: BF8CC07F
	s_barrier                                                  // 000000004A44: BF8A0000
	ds_read_b32 v64, v4 offset:22784                           // 000000004A48: D86C5900 40000004
	ds_read_b32 v65, v4 offset:27136                           // 000000004A50: D86C6A00 41000004
	ds_read_b32 v66, v4 offset:22816                           // 000000004A58: D86C5920 42000004
	ds_read_b32 v67, v4 offset:27168                           // 000000004A60: D86C6A20 43000004
	ds_read_b32 v68, v4 offset:22848                           // 000000004A68: D86C5940 44000004
	ds_read_b32 v69, v4 offset:27200                           // 000000004A70: D86C6A40 45000004
	ds_read_b32 v70, v4 offset:22880                           // 000000004A78: D86C5960 46000004
	ds_read_b32 v71, v4 offset:27232                           // 000000004A80: D86C6A60 47000004
	ds_read_b32 v72, v4 offset:31488                           // 000000004A88: D86C7B00 48000004
	ds_read_b32 v73, v4 offset:35840                           // 000000004A90: D86C8C00 49000004
	ds_read_b32 v74, v4 offset:31520                           // 000000004A98: D86C7B20 4A000004
	ds_read_b32 v75, v4 offset:35872                           // 000000004AA0: D86C8C20 4B000004
	ds_read_b32 v76, v4 offset:31552                           // 000000004AA8: D86C7B40 4C000004
	ds_read_b32 v77, v4 offset:35904                           // 000000004AB0: D86C8C40 4D000004
	ds_read_b32 v78, v4 offset:31584                           // 000000004AB8: D86C7B60 4E000004
	ds_read_b32 v79, v4 offset:35936                           // 000000004AC0: D86C8C60 4F000004
	s_waitcnt lgkmcnt(0)                                       // 000000004AC8: BF8CC07F
	s_mov_b64 exec, s[20:21]                                   // 000000004ACC: BEFE0114
	global_atomic_pk_add_bf16 v80, v64, s[8:9]                 // 000000004AD0: DD488000 00084050
	s_mov_b64 exec, s[36:37]                                   // 000000004AD8: BEFE0124
	s_mov_b64 exec, s[20:21]                                   // 000000004ADC: BEFE0114
	global_atomic_pk_add_bf16 v80, v65, s[8:9] offset:256      // 000000004AE0: DD488100 00084150
	s_mov_b64 exec, s[36:37]                                   // 000000004AE8: BEFE0124
	s_mov_b64 exec, s[22:23]                                   // 000000004AEC: BEFE0116
	global_atomic_pk_add_bf16 v82, v66, s[8:9]                 // 000000004AF0: DD488000 00084252
	s_mov_b64 exec, s[36:37]                                   // 000000004AF8: BEFE0124
	s_mov_b64 exec, s[22:23]                                   // 000000004AFC: BEFE0116
	global_atomic_pk_add_bf16 v82, v67, s[8:9] offset:256      // 000000004B00: DD488100 00084352
	s_mov_b64 exec, s[36:37]                                   // 000000004B08: BEFE0124
	s_mov_b64 exec, s[24:25]                                   // 000000004B0C: BEFE0118
	global_atomic_pk_add_bf16 v84, v68, s[8:9]                 // 000000004B10: DD488000 00084454
	s_mov_b64 exec, s[36:37]                                   // 000000004B18: BEFE0124
	s_mov_b64 exec, s[24:25]                                   // 000000004B1C: BEFE0118
	global_atomic_pk_add_bf16 v84, v69, s[8:9] offset:256      // 000000004B20: DD488100 00084554
	s_mov_b64 exec, s[36:37]                                   // 000000004B28: BEFE0124
	s_mov_b64 exec, s[26:27]                                   // 000000004B2C: BEFE011A
	global_atomic_pk_add_bf16 v86, v70, s[8:9]                 // 000000004B30: DD488000 00084656
	s_mov_b64 exec, s[36:37]                                   // 000000004B38: BEFE0124
	s_mov_b64 exec, s[26:27]                                   // 000000004B3C: BEFE011A
	global_atomic_pk_add_bf16 v86, v71, s[8:9] offset:256      // 000000004B40: DD488100 00084756
	s_mov_b64 exec, s[36:37]                                   // 000000004B48: BEFE0124
	s_mov_b64 exec, s[28:29]                                   // 000000004B4C: BEFE011C
	global_atomic_pk_add_bf16 v88, v72, s[8:9]                 // 000000004B50: DD488000 00084858
	s_mov_b64 exec, s[36:37]                                   // 000000004B58: BEFE0124
	s_mov_b64 exec, s[28:29]                                   // 000000004B5C: BEFE011C
	global_atomic_pk_add_bf16 v88, v73, s[8:9] offset:256      // 000000004B60: DD488100 00084958
	s_mov_b64 exec, s[36:37]                                   // 000000004B68: BEFE0124
	s_mov_b64 exec, s[30:31]                                   // 000000004B6C: BEFE011E
	global_atomic_pk_add_bf16 v90, v74, s[8:9]                 // 000000004B70: DD488000 00084A5A
	s_mov_b64 exec, s[36:37]                                   // 000000004B78: BEFE0124
	s_mov_b64 exec, s[30:31]                                   // 000000004B7C: BEFE011E
	global_atomic_pk_add_bf16 v90, v75, s[8:9] offset:256      // 000000004B80: DD488100 00084B5A
	s_mov_b64 exec, s[36:37]                                   // 000000004B88: BEFE0124
	s_mov_b64 exec, s[32:33]                                   // 000000004B8C: BEFE0120
	global_atomic_pk_add_bf16 v92, v76, s[8:9]                 // 000000004B90: DD488000 00084C5C
	s_mov_b64 exec, s[36:37]                                   // 000000004B98: BEFE0124
	s_mov_b64 exec, s[32:33]                                   // 000000004B9C: BEFE0120
	global_atomic_pk_add_bf16 v92, v77, s[8:9] offset:256      // 000000004BA0: DD488100 00084D5C
	s_mov_b64 exec, s[36:37]                                   // 000000004BA8: BEFE0124
	s_mov_b64 exec, s[34:35]                                   // 000000004BAC: BEFE0122
	global_atomic_pk_add_bf16 v94, v78, s[8:9]                 // 000000004BB0: DD488000 00084E5E
	s_mov_b64 exec, s[36:37]                                   // 000000004BB8: BEFE0124
	s_mov_b64 exec, s[34:35]                                   // 000000004BBC: BEFE0122
	global_atomic_pk_add_bf16 v94, v79, s[8:9] offset:256      // 000000004BC0: DD488100 00084F5E
	s_mov_b64 exec, s[36:37]                                   // 000000004BC8: BEFE0124
	s_add_u32 s8, s59, s8                                      // 000000004BCC: 8008083B
	s_addc_u32 s9, 0, s9                                       // 000000004BD0: 82090980
	s_addk_i32 s80, 0x100                                      // 000000004BD4: B7500100
	s_cmp_lt_i32 s80, s81                                      // 000000004BD8: BF045150
	s_cbranch_scc0 label_0A72                                  // 000000004BDC: BF84023A
	s_waitcnt vmcnt(21)                                        // 000000004BE0: BF8C4F75
	s_barrier                                                  // 000000004BE4: BF8A0000
	v_mfma_f32_16x16x32_fp8_fp8 v[176:179], a[32:33], v[128:129], 0// 000000004BE8: D3F300B0 0A030120
	v_mfma_f32_16x16x32_fp8_fp8 v[176:179], a[34:35], v[130:131], v[176:179]// 000000004BF0: D3F300B0 0EC30522
	buffer_load_dwordx4 a[0:3], v34, s[12:15], 0 offen         // 000000004BF8: E05C1000 80830022
	v_mfma_f32_16x16x32_fp8_fp8 v[180:183], a[32:33], v[136:137], 0// 000000004C00: D3F300B4 0A031120
	v_mfma_f32_16x16x32_fp8_fp8 v[180:183], a[34:35], v[138:139], v[180:183]// 000000004C08: D3F300B4 0ED31522
	v_mfma_f32_16x16x32_fp8_fp8 v[184:187], a[36:37], v[128:129], 0// 000000004C10: D3F300B8 0A030124
	v_mfma_f32_16x16x32_fp8_fp8 v[184:187], a[38:39], v[130:131], v[184:187]// 000000004C18: D3F300B8 0EE30526
	buffer_load_dwordx4 a[4:7], v35, s[12:15], 0 offen         // 000000004C20: E05C1000 80830423
	v_mfma_f32_16x16x32_fp8_fp8 v[188:191], a[36:37], v[136:137], 0// 000000004C28: D3F300BC 0A031124
	v_mfma_f32_16x16x32_fp8_fp8 v[188:191], a[38:39], v[138:139], v[188:191]// 000000004C30: D3F300BC 0EF31526
	v_mfma_f32_16x16x32_fp8_fp8 v[192:195], a[40:41], v[128:129], 0// 000000004C38: D3F300C0 0A030128
	v_mfma_f32_16x16x32_fp8_fp8 v[192:195], a[42:43], v[130:131], v[192:195]// 000000004C40: D3F300C0 0F03052A
	buffer_load_dwordx4 a[8:11], v36, s[12:15], 0 offen        // 000000004C48: E05C1000 80830824
	v_mfma_f32_16x16x32_fp8_fp8 v[196:199], a[40:41], v[136:137], 0// 000000004C50: D3F300C4 0A031128
	v_mfma_f32_16x16x32_fp8_fp8 v[196:199], a[42:43], v[138:139], v[196:199]// 000000004C58: D3F300C4 0F13152A
	v_mfma_f32_16x16x32_fp8_fp8 v[200:203], a[44:45], v[128:129], 0// 000000004C60: D3F300C8 0A03012C
	v_mfma_f32_16x16x32_fp8_fp8 v[200:203], a[46:47], v[130:131], v[200:203]// 000000004C68: D3F300C8 0F23052E
	buffer_load_dwordx4 a[12:15], v37, s[12:15], 0 offen       // 000000004C70: E05C1000 80830C25
	s_add_u32 s12, s78, s12                                    // 000000004C78: 800C0C4E
	s_addc_u32 s13, 0, s13                                     // 000000004C7C: 820D0D80
	v_mfma_f32_16x16x32_fp8_fp8 v[204:207], a[44:45], v[136:137], 0// 000000004C80: D3F300CC 0A03112C
	v_mfma_f32_16x16x32_fp8_fp8 v[204:207], a[46:47], v[138:139], v[204:207]// 000000004C88: D3F300CC 0F33152E
	s_waitcnt vmcnt(20)                                        // 000000004C90: BF8C4F74
	v_mfma_f32_16x16x32_fp8_fp8 v[176:179], a[48:49], v[132:133], v[176:179]// 000000004C94: D3F300B0 0EC30930
	v_mfma_f32_16x16x32_fp8_fp8 v[176:179], a[50:51], v[134:135], v[176:179]// 000000004C9C: D3F300B0 0EC30D32
	buffer_load_dwordx4 a[16:19], v34, s[12:15], 0 offen       // 000000004CA4: E05C1000 80831022
	v_mfma_f32_16x16x32_fp8_fp8 v[180:183], a[48:49], v[140:141], v[180:183]// 000000004CAC: D3F300B4 0ED31930
	v_mfma_f32_16x16x32_fp8_fp8 v[180:183], a[50:51], v[142:143], v[180:183]// 000000004CB4: D3F300B4 0ED31D32
	buffer_load_dword v11, v5, s[16:19], 0 offen               // 000000004CBC: E0501000 80040B05
	v_mfma_f32_16x16x32_fp8_fp8 v[184:187], a[52:53], v[132:133], v[184:187]// 000000004CC4: D3F300B8 0EE30934
	v_mfma_f32_16x16x32_fp8_fp8 v[184:187], a[54:55], v[134:135], v[184:187]// 000000004CCC: D3F300B8 0EE30D36
	buffer_load_dwordx4 a[20:23], v35, s[12:15], 0 offen       // 000000004CD4: E05C1000 80831423
	v_mfma_f32_16x16x32_fp8_fp8 v[188:191], a[52:53], v[140:141], v[188:191]// 000000004CDC: D3F300BC 0EF31934
	v_mfma_f32_16x16x32_fp8_fp8 v[188:191], a[54:55], v[142:143], v[188:191]// 000000004CE4: D3F300BC 0EF31D36
	v_mfma_f32_16x16x32_fp8_fp8 v[192:195], a[56:57], v[132:133], v[192:195]// 000000004CEC: D3F300C0 0F030938
	v_mfma_f32_16x16x32_fp8_fp8 v[192:195], a[58:59], v[134:135], v[192:195]// 000000004CF4: D3F300C0 0F030D3A
	buffer_load_dwordx4 a[24:27], v36, s[12:15], 0 offen       // 000000004CFC: E05C1000 80831824
	v_mfma_f32_16x16x32_fp8_fp8 v[196:199], a[56:57], v[140:141], v[196:199]// 000000004D04: D3F300C4 0F131938
	v_mfma_f32_16x16x32_fp8_fp8 v[196:199], a[58:59], v[142:143], v[196:199]// 000000004D0C: D3F300C4 0F131D3A
	v_mfma_f32_16x16x32_fp8_fp8 v[200:203], a[60:61], v[132:133], v[200:203]// 000000004D14: D3F300C8 0F23093C
	v_mfma_f32_16x16x32_fp8_fp8 v[200:203], a[62:63], v[134:135], v[200:203]// 000000004D1C: D3F300C8 0F230D3E
	buffer_load_dwordx4 a[28:31], v37, s[12:15], 0 offen       // 000000004D24: E05C1000 80831C25
	v_mfma_f32_16x16x32_fp8_fp8 v[204:207], a[60:61], v[140:141], v[204:207]// 000000004D2C: D3F300CC 0F33193C
	v_mfma_f32_16x16x32_fp8_fp8 v[204:207], a[62:63], v[142:143], v[204:207]// 000000004D34: D3F300CC 0F331D3E
	s_add_u32 s60, 0x200, s80                                  // 000000004D3C: 803C50FF 00000200
	s_cmp_lt_u32 s60, s81                                      // 000000004D44: BF0A513C
	s_cselect_b32 s56, s56, 0                                  // 000000004D48: 85388038
	s_cselect_b32 s78, s78, 0                                  // 000000004D4C: 854E804E
	s_cselect_b32 s79, s79, 0                                  // 000000004D50: 854F804F
	s_add_u32 s12, s56, s12                                    // 000000004D54: 800C0C38
	s_addc_u32 s13, 0, s13                                     // 000000004D58: 820D0D80
	s_add_u32 s16, s79, s16                                    // 000000004D5C: 8010104F
	s_addc_u32 s17, 0, s17                                     // 000000004D60: 82111180
	v_mul_f32_e32 v176, v22, v176                              // 000000004D64: 0B616116
	v_mul_f32_e32 v177, v22, v177                              // 000000004D68: 0B636316
	v_mul_f32_e32 v178, v22, v178                              // 000000004D6C: 0B656516
	v_mul_f32_e32 v179, v22, v179                              // 000000004D70: 0B676716
	v_mul_f32_dpp v176, v12, v176 row_newbcast:0 row_mask:0xf bank_mask:0xf// 000000004D74: 0B6160FA FF01500C
	v_mul_f32_dpp v177, v12, v177 row_newbcast:1 row_mask:0xf bank_mask:0xf// 000000004D7C: 0B6362FA FF01510C
	v_mul_f32_dpp v178, v12, v178 row_newbcast:2 row_mask:0xf bank_mask:0xf// 000000004D84: 0B6564FA FF01520C
	v_mul_f32_dpp v179, v12, v179 row_newbcast:3 row_mask:0xf bank_mask:0xf// 000000004D8C: 0B6766FA FF01530C
	v_mul_f32_e32 v176, v17, v176                              // 000000004D94: 0B616111
	v_mul_f32_e32 v177, v17, v177                              // 000000004D98: 0B636311
	v_mul_f32_e32 v178, v17, v178                              // 000000004D9C: 0B656511
	v_mul_f32_e32 v179, v17, v179                              // 000000004DA0: 0B676711
	v_mul_f32_e32 v180, v23, v180                              // 000000004DA4: 0B696917
	v_mul_f32_e32 v181, v23, v181                              // 000000004DA8: 0B6B6B17
	v_mul_f32_e32 v182, v23, v182                              // 000000004DAC: 0B6D6D17
	v_mul_f32_e32 v183, v23, v183                              // 000000004DB0: 0B6F6F17
	v_mul_f32_dpp v180, v12, v180 row_newbcast:0 row_mask:0xf bank_mask:0xf// 000000004DB4: 0B6968FA FF01500C
	v_mul_f32_dpp v181, v12, v181 row_newbcast:1 row_mask:0xf bank_mask:0xf// 000000004DBC: 0B6B6AFA FF01510C
	v_mul_f32_dpp v182, v12, v182 row_newbcast:2 row_mask:0xf bank_mask:0xf// 000000004DC4: 0B6D6CFA FF01520C
	v_mul_f32_dpp v183, v12, v183 row_newbcast:3 row_mask:0xf bank_mask:0xf// 000000004DCC: 0B6F6EFA FF01530C
	v_mul_f32_e32 v180, v18, v180                              // 000000004DD4: 0B696912
	v_mul_f32_e32 v181, v18, v181                              // 000000004DD8: 0B6B6B12
	v_mul_f32_e32 v182, v18, v182                              // 000000004DDC: 0B6D6D12
	v_mul_f32_e32 v183, v18, v183                              // 000000004DE0: 0B6F6F12
	v_mul_f32_e32 v184, v22, v184                              // 000000004DE4: 0B717116
	v_mul_f32_e32 v185, v22, v185                              // 000000004DE8: 0B737316
	v_mul_f32_e32 v186, v22, v186                              // 000000004DEC: 0B757516
	v_mul_f32_e32 v187, v22, v187                              // 000000004DF0: 0B777716
	v_mul_f32_dpp v184, v12, v184 row_newbcast:4 row_mask:0xf bank_mask:0xf// 000000004DF4: 0B7170FA FF01540C
	v_mul_f32_dpp v185, v12, v185 row_newbcast:5 row_mask:0xf bank_mask:0xf// 000000004DFC: 0B7372FA FF01550C
	v_mul_f32_dpp v186, v12, v186 row_newbcast:6 row_mask:0xf bank_mask:0xf// 000000004E04: 0B7574FA FF01560C
	v_mul_f32_dpp v187, v12, v187 row_newbcast:7 row_mask:0xf bank_mask:0xf// 000000004E0C: 0B7776FA FF01570C
	v_mul_f32_e32 v184, v17, v184                              // 000000004E14: 0B717111
	v_mul_f32_e32 v185, v17, v185                              // 000000004E18: 0B737311
	v_mul_f32_e32 v186, v17, v186                              // 000000004E1C: 0B757511
	v_mul_f32_e32 v187, v17, v187                              // 000000004E20: 0B777711
	v_mul_f32_e32 v188, v23, v188                              // 000000004E24: 0B797917
	v_mul_f32_e32 v189, v23, v189                              // 000000004E28: 0B7B7B17
	v_mul_f32_e32 v190, v23, v190                              // 000000004E2C: 0B7D7D17
	v_mul_f32_e32 v191, v23, v191                              // 000000004E30: 0B7F7F17
	v_mul_f32_dpp v188, v12, v188 row_newbcast:4 row_mask:0xf bank_mask:0xf// 000000004E34: 0B7978FA FF01540C
	v_mul_f32_dpp v189, v12, v189 row_newbcast:5 row_mask:0xf bank_mask:0xf// 000000004E3C: 0B7B7AFA FF01550C
	v_mul_f32_dpp v190, v12, v190 row_newbcast:6 row_mask:0xf bank_mask:0xf// 000000004E44: 0B7D7CFA FF01560C
	v_mul_f32_dpp v191, v12, v191 row_newbcast:7 row_mask:0xf bank_mask:0xf// 000000004E4C: 0B7F7EFA FF01570C
	v_mul_f32_e32 v188, v18, v188                              // 000000004E54: 0B797912
	v_mul_f32_e32 v189, v18, v189                              // 000000004E58: 0B7B7B12
	v_mul_f32_e32 v190, v18, v190                              // 000000004E5C: 0B7D7D12
	v_mul_f32_e32 v191, v18, v191                              // 000000004E60: 0B7F7F12
	v_mul_f32_e32 v192, v22, v192                              // 000000004E64: 0B818116
	v_mul_f32_e32 v193, v22, v193                              // 000000004E68: 0B838316
	v_mul_f32_e32 v194, v22, v194                              // 000000004E6C: 0B858516
	v_mul_f32_e32 v195, v22, v195                              // 000000004E70: 0B878716
	v_mul_f32_dpp v192, v12, v192 row_newbcast:8 row_mask:0xf bank_mask:0xf// 000000004E74: 0B8180FA FF01580C
	v_mul_f32_dpp v193, v12, v193 row_newbcast:9 row_mask:0xf bank_mask:0xf// 000000004E7C: 0B8382FA FF01590C
	v_mul_f32_dpp v194, v12, v194 row_newbcast:10 row_mask:0xf bank_mask:0xf// 000000004E84: 0B8584FA FF015A0C
	v_mul_f32_dpp v195, v12, v195 row_newbcast:11 row_mask:0xf bank_mask:0xf// 000000004E8C: 0B8786FA FF015B0C
	v_mul_f32_e32 v192, v17, v192                              // 000000004E94: 0B818111
	v_mul_f32_e32 v193, v17, v193                              // 000000004E98: 0B838311
	v_mul_f32_e32 v194, v17, v194                              // 000000004E9C: 0B858511
	v_mul_f32_e32 v195, v17, v195                              // 000000004EA0: 0B878711
	v_mul_f32_e32 v196, v23, v196                              // 000000004EA4: 0B898917
	v_mul_f32_e32 v197, v23, v197                              // 000000004EA8: 0B8B8B17
	v_mul_f32_e32 v198, v23, v198                              // 000000004EAC: 0B8D8D17
	v_mul_f32_e32 v199, v23, v199                              // 000000004EB0: 0B8F8F17
	v_mul_f32_dpp v196, v12, v196 row_newbcast:8 row_mask:0xf bank_mask:0xf// 000000004EB4: 0B8988FA FF01580C
	v_mul_f32_dpp v197, v12, v197 row_newbcast:9 row_mask:0xf bank_mask:0xf// 000000004EBC: 0B8B8AFA FF01590C
	v_mul_f32_dpp v198, v12, v198 row_newbcast:10 row_mask:0xf bank_mask:0xf// 000000004EC4: 0B8D8CFA FF015A0C
	v_mul_f32_dpp v199, v12, v199 row_newbcast:11 row_mask:0xf bank_mask:0xf// 000000004ECC: 0B8F8EFA FF015B0C
	v_mul_f32_e32 v196, v18, v196                              // 000000004ED4: 0B898912
	v_mul_f32_e32 v197, v18, v197                              // 000000004ED8: 0B8B8B12
	v_mul_f32_e32 v198, v18, v198                              // 000000004EDC: 0B8D8D12
	v_mul_f32_e32 v199, v18, v199                              // 000000004EE0: 0B8F8F12
	v_mul_f32_e32 v200, v22, v200                              // 000000004EE4: 0B919116
	v_mul_f32_e32 v201, v22, v201                              // 000000004EE8: 0B939316
	v_mul_f32_e32 v202, v22, v202                              // 000000004EEC: 0B959516
	v_mul_f32_e32 v203, v22, v203                              // 000000004EF0: 0B979716
	v_mul_f32_dpp v200, v12, v200 row_newbcast:12 row_mask:0xf bank_mask:0xf// 000000004EF4: 0B9190FA FF015C0C
	v_mul_f32_dpp v201, v12, v201 row_newbcast:13 row_mask:0xf bank_mask:0xf// 000000004EFC: 0B9392FA FF015D0C
	v_mul_f32_dpp v202, v12, v202 row_newbcast:14 row_mask:0xf bank_mask:0xf// 000000004F04: 0B9594FA FF015E0C
	v_mul_f32_dpp v203, v12, v203 row_newbcast:15 row_mask:0xf bank_mask:0xf// 000000004F0C: 0B9796FA FF015F0C
	v_mul_f32_e32 v200, v17, v200                              // 000000004F14: 0B919111
	v_mul_f32_e32 v201, v17, v201                              // 000000004F18: 0B939311
	v_mul_f32_e32 v202, v17, v202                              // 000000004F1C: 0B959511
	v_mul_f32_e32 v203, v17, v203                              // 000000004F20: 0B979711
	v_mul_f32_e32 v204, v23, v204                              // 000000004F24: 0B999917
	v_mul_f32_e32 v205, v23, v205                              // 000000004F28: 0B9B9B17
	v_mul_f32_e32 v206, v23, v206                              // 000000004F2C: 0B9D9D17
	v_mul_f32_e32 v207, v23, v207                              // 000000004F30: 0B9F9F17
	v_mul_f32_dpp v204, v12, v204 row_newbcast:12 row_mask:0xf bank_mask:0xf// 000000004F34: 0B9998FA FF015C0C
	v_mul_f32_dpp v205, v12, v205 row_newbcast:13 row_mask:0xf bank_mask:0xf// 000000004F3C: 0B9B9AFA FF015D0C
	v_mul_f32_dpp v206, v12, v206 row_newbcast:14 row_mask:0xf bank_mask:0xf// 000000004F44: 0B9D9CFA FF015E0C
	v_mul_f32_dpp v207, v12, v207 row_newbcast:15 row_mask:0xf bank_mask:0xf// 000000004F4C: 0B9F9EFA FF015F0C
	v_mul_f32_e32 v204, v18, v204                              // 000000004F54: 0B999912
	v_mul_f32_e32 v205, v18, v205                              // 000000004F58: 0B9B9B12
	v_mul_f32_e32 v206, v18, v206                              // 000000004F5C: 0B9D9D12
	v_mul_f32_e32 v207, v18, v207                              // 000000004F60: 0B9F9F12
	v_cmp_u_f32_e64 s[48:49], v176, v176                       // 000000004F64: D0480030 000361B0
	v_add3_u32 v38, v176, v41, 1                               // 000000004F6C: D1FF0026 020653B0
	v_cndmask_b32_e64 v44, v38, v40, s[48:49]                  // 000000004F74: D100002C 00C25126
	v_cmp_u_f32_e64 s[48:49], v177, v177                       // 000000004F7C: D0480030 000363B1
	v_add3_u32 v38, v177, v41, 1                               // 000000004F84: D1FF0026 020653B1
	v_cndmask_b32_e64 v45, v38, v40, s[48:49]                  // 000000004F8C: D100002D 00C25126
	v_perm_b32 v176, v45, v44, s52                             // 000000004F94: D1ED00B0 00D2592D
	v_cmp_u_f32_e64 s[48:49], v178, v178                       // 000000004F9C: D0480030 000365B2
	v_add3_u32 v38, v178, v41, 1                               // 000000004FA4: D1FF0026 020653B2
	v_cndmask_b32_e64 v44, v38, v40, s[48:49]                  // 000000004FAC: D100002C 00C25126
	v_cmp_u_f32_e64 s[48:49], v179, v179                       // 000000004FB4: D0480030 000367B3
	v_add3_u32 v38, v179, v41, 1                               // 000000004FBC: D1FF0026 020653B3
	v_cndmask_b32_e64 v45, v38, v40, s[48:49]                  // 000000004FC4: D100002D 00C25126
	v_perm_b32 v177, v45, v44, s52                             // 000000004FCC: D1ED00B1 00D2592D
	v_cmp_u_f32_e64 s[48:49], v180, v180                       // 000000004FD4: D0480030 000369B4
	v_add3_u32 v38, v180, v41, 1                               // 000000004FDC: D1FF0026 020653B4
	v_cndmask_b32_e64 v44, v38, v40, s[48:49]                  // 000000004FE4: D100002C 00C25126
	v_cmp_u_f32_e64 s[48:49], v181, v181                       // 000000004FEC: D0480030 00036BB5
	v_add3_u32 v38, v181, v41, 1                               // 000000004FF4: D1FF0026 020653B5
	v_cndmask_b32_e64 v45, v38, v40, s[48:49]                  // 000000004FFC: D100002D 00C25126
	v_perm_b32 v178, v45, v44, s52                             // 000000005004: D1ED00B2 00D2592D
	v_cmp_u_f32_e64 s[48:49], v182, v182                       // 00000000500C: D0480030 00036DB6
	v_add3_u32 v38, v182, v41, 1                               // 000000005014: D1FF0026 020653B6
	v_cndmask_b32_e64 v44, v38, v40, s[48:49]                  // 00000000501C: D100002C 00C25126
	v_cmp_u_f32_e64 s[48:49], v183, v183                       // 000000005024: D0480030 00036FB7
	v_add3_u32 v38, v183, v41, 1                               // 00000000502C: D1FF0026 020653B7
	v_cndmask_b32_e64 v45, v38, v40, s[48:49]                  // 000000005034: D100002D 00C25126
	v_perm_b32 v179, v45, v44, s52                             // 00000000503C: D1ED00B3 00D2592D
	v_cmp_u_f32_e64 s[48:49], v184, v184                       // 000000005044: D0480030 000371B8
	v_add3_u32 v38, v184, v41, 1                               // 00000000504C: D1FF0026 020653B8
	v_cndmask_b32_e64 v44, v38, v40, s[48:49]                  // 000000005054: D100002C 00C25126
	v_cmp_u_f32_e64 s[48:49], v185, v185                       // 00000000505C: D0480030 000373B9
	v_add3_u32 v38, v185, v41, 1                               // 000000005064: D1FF0026 020653B9
	v_cndmask_b32_e64 v45, v38, v40, s[48:49]                  // 00000000506C: D100002D 00C25126
	v_perm_b32 v180, v45, v44, s52                             // 000000005074: D1ED00B4 00D2592D
	v_cmp_u_f32_e64 s[48:49], v186, v186                       // 00000000507C: D0480030 000375BA
	v_add3_u32 v38, v186, v41, 1                               // 000000005084: D1FF0026 020653BA
	v_cndmask_b32_e64 v44, v38, v40, s[48:49]                  // 00000000508C: D100002C 00C25126
	v_cmp_u_f32_e64 s[48:49], v187, v187                       // 000000005094: D0480030 000377BB
	v_add3_u32 v38, v187, v41, 1                               // 00000000509C: D1FF0026 020653BB
	v_cndmask_b32_e64 v45, v38, v40, s[48:49]                  // 0000000050A4: D100002D 00C25126
	v_perm_b32 v181, v45, v44, s52                             // 0000000050AC: D1ED00B5 00D2592D
	v_cmp_u_f32_e64 s[48:49], v188, v188                       // 0000000050B4: D0480030 000379BC
	v_add3_u32 v38, v188, v41, 1                               // 0000000050BC: D1FF0026 020653BC
	v_cndmask_b32_e64 v44, v38, v40, s[48:49]                  // 0000000050C4: D100002C 00C25126
	v_cmp_u_f32_e64 s[48:49], v189, v189                       // 0000000050CC: D0480030 00037BBD
	v_add3_u32 v38, v189, v41, 1                               // 0000000050D4: D1FF0026 020653BD
	v_cndmask_b32_e64 v45, v38, v40, s[48:49]                  // 0000000050DC: D100002D 00C25126
	v_perm_b32 v182, v45, v44, s52                             // 0000000050E4: D1ED00B6 00D2592D
	v_cmp_u_f32_e64 s[48:49], v190, v190                       // 0000000050EC: D0480030 00037DBE
	v_add3_u32 v38, v190, v41, 1                               // 0000000050F4: D1FF0026 020653BE
	v_cndmask_b32_e64 v44, v38, v40, s[48:49]                  // 0000000050FC: D100002C 00C25126
	v_cmp_u_f32_e64 s[48:49], v191, v191                       // 000000005104: D0480030 00037FBF
	v_add3_u32 v38, v191, v41, 1                               // 00000000510C: D1FF0026 020653BF
	v_cndmask_b32_e64 v45, v38, v40, s[48:49]                  // 000000005114: D100002D 00C25126
	v_perm_b32 v183, v45, v44, s52                             // 00000000511C: D1ED00B7 00D2592D
	v_cmp_u_f32_e64 s[48:49], v192, v192                       // 000000005124: D0480030 000381C0
	v_add3_u32 v38, v192, v41, 1                               // 00000000512C: D1FF0026 020653C0
	v_cndmask_b32_e64 v44, v38, v40, s[48:49]                  // 000000005134: D100002C 00C25126
	v_cmp_u_f32_e64 s[48:49], v193, v193                       // 00000000513C: D0480030 000383C1
	v_add3_u32 v38, v193, v41, 1                               // 000000005144: D1FF0026 020653C1
	v_cndmask_b32_e64 v45, v38, v40, s[48:49]                  // 00000000514C: D100002D 00C25126
	v_perm_b32 v184, v45, v44, s52                             // 000000005154: D1ED00B8 00D2592D
	v_cmp_u_f32_e64 s[48:49], v194, v194                       // 00000000515C: D0480030 000385C2
	v_add3_u32 v38, v194, v41, 1                               // 000000005164: D1FF0026 020653C2
	v_cndmask_b32_e64 v44, v38, v40, s[48:49]                  // 00000000516C: D100002C 00C25126
	v_cmp_u_f32_e64 s[48:49], v195, v195                       // 000000005174: D0480030 000387C3
	v_add3_u32 v38, v195, v41, 1                               // 00000000517C: D1FF0026 020653C3
	v_cndmask_b32_e64 v45, v38, v40, s[48:49]                  // 000000005184: D100002D 00C25126
	v_perm_b32 v185, v45, v44, s52                             // 00000000518C: D1ED00B9 00D2592D
	v_cmp_u_f32_e64 s[48:49], v196, v196                       // 000000005194: D0480030 000389C4
	v_add3_u32 v38, v196, v41, 1                               // 00000000519C: D1FF0026 020653C4
	v_cndmask_b32_e64 v44, v38, v40, s[48:49]                  // 0000000051A4: D100002C 00C25126
	v_cmp_u_f32_e64 s[48:49], v197, v197                       // 0000000051AC: D0480030 00038BC5
	v_add3_u32 v38, v197, v41, 1                               // 0000000051B4: D1FF0026 020653C5
	v_cndmask_b32_e64 v45, v38, v40, s[48:49]                  // 0000000051BC: D100002D 00C25126
	v_perm_b32 v186, v45, v44, s52                             // 0000000051C4: D1ED00BA 00D2592D
	v_cmp_u_f32_e64 s[48:49], v198, v198                       // 0000000051CC: D0480030 00038DC6
	v_add3_u32 v38, v198, v41, 1                               // 0000000051D4: D1FF0026 020653C6
	v_cndmask_b32_e64 v44, v38, v40, s[48:49]                  // 0000000051DC: D100002C 00C25126
	v_cmp_u_f32_e64 s[48:49], v199, v199                       // 0000000051E4: D0480030 00038FC7
	v_add3_u32 v38, v199, v41, 1                               // 0000000051EC: D1FF0026 020653C7
	v_cndmask_b32_e64 v45, v38, v40, s[48:49]                  // 0000000051F4: D100002D 00C25126
	v_perm_b32 v187, v45, v44, s52                             // 0000000051FC: D1ED00BB 00D2592D
	v_cmp_u_f32_e64 s[48:49], v200, v200                       // 000000005204: D0480030 000391C8
	v_add3_u32 v38, v200, v41, 1                               // 00000000520C: D1FF0026 020653C8
	v_cndmask_b32_e64 v44, v38, v40, s[48:49]                  // 000000005214: D100002C 00C25126
	v_cmp_u_f32_e64 s[48:49], v201, v201                       // 00000000521C: D0480030 000393C9
	v_add3_u32 v38, v201, v41, 1                               // 000000005224: D1FF0026 020653C9
	v_cndmask_b32_e64 v45, v38, v40, s[48:49]                  // 00000000522C: D100002D 00C25126
	v_perm_b32 v188, v45, v44, s52                             // 000000005234: D1ED00BC 00D2592D
	v_cmp_u_f32_e64 s[48:49], v202, v202                       // 00000000523C: D0480030 000395CA
	v_add3_u32 v38, v202, v41, 1                               // 000000005244: D1FF0026 020653CA
	v_cndmask_b32_e64 v44, v38, v40, s[48:49]                  // 00000000524C: D100002C 00C25126
	v_cmp_u_f32_e64 s[48:49], v203, v203                       // 000000005254: D0480030 000397CB
	v_add3_u32 v38, v203, v41, 1                               // 00000000525C: D1FF0026 020653CB
	v_cndmask_b32_e64 v45, v38, v40, s[48:49]                  // 000000005264: D100002D 00C25126
	v_perm_b32 v189, v45, v44, s52                             // 00000000526C: D1ED00BD 00D2592D
	v_cmp_u_f32_e64 s[48:49], v204, v204                       // 000000005274: D0480030 000399CC
	v_add3_u32 v38, v204, v41, 1                               // 00000000527C: D1FF0026 020653CC
	v_cndmask_b32_e64 v44, v38, v40, s[48:49]                  // 000000005284: D100002C 00C25126
	v_cmp_u_f32_e64 s[48:49], v205, v205                       // 00000000528C: D0480030 00039BCD
	v_add3_u32 v38, v205, v41, 1                               // 000000005294: D1FF0026 020653CD
	v_cndmask_b32_e64 v45, v38, v40, s[48:49]                  // 00000000529C: D100002D 00C25126
	v_perm_b32 v190, v45, v44, s52                             // 0000000052A4: D1ED00BE 00D2592D
	v_cmp_u_f32_e64 s[48:49], v206, v206                       // 0000000052AC: D0480030 00039DCE
	v_add3_u32 v38, v206, v41, 1                               // 0000000052B4: D1FF0026 020653CE
	v_cndmask_b32_e64 v44, v38, v40, s[48:49]                  // 0000000052BC: D100002C 00C25126
	v_cmp_u_f32_e64 s[48:49], v207, v207                       // 0000000052C4: D0480030 00039FCF
	v_add3_u32 v38, v207, v41, 1                               // 0000000052CC: D1FF0026 020653CF
	v_cndmask_b32_e64 v45, v38, v40, s[48:49]                  // 0000000052D4: D100002D 00C25126
	v_perm_b32 v191, v45, v44, s52                             // 0000000052DC: D1ED00BF 00D2592D
	ds_write_b64 v3, v[176:177] offset:22784                   // 0000000052E4: D89A5900 0000B003
	ds_write_b64 v3, v[178:179] offset:31488                   // 0000000052EC: D89A7B00 0000B203
	ds_write_b64 v3, v[180:181] offset:24960                   // 0000000052F4: D89A6180 0000B403
	ds_write_b64 v3, v[182:183] offset:33664                   // 0000000052FC: D89A8380 0000B603
	ds_write_b64 v3, v[184:185] offset:27136                   // 000000005304: D89A6A00 0000B803
	ds_write_b64 v3, v[186:187] offset:35840                   // 00000000530C: D89A8C00 0000BA03
	ds_write_b64 v3, v[188:189] offset:29312                   // 000000005314: D89A7280 0000BC03
	ds_write_b64 v3, v[190:191] offset:38016                   // 00000000531C: D89A9480 0000BE03
	s_waitcnt lgkmcnt(0)                                       // 000000005324: BF8CC07F
	s_barrier                                                  // 000000005328: BF8A0000
	ds_read_b32 v64, v4 offset:22784                           // 00000000532C: D86C5900 40000004
	ds_read_b32 v65, v4 offset:27136                           // 000000005334: D86C6A00 41000004
	ds_read_b32 v66, v4 offset:22816                           // 00000000533C: D86C5920 42000004
	ds_read_b32 v67, v4 offset:27168                           // 000000005344: D86C6A20 43000004
	ds_read_b32 v68, v4 offset:22848                           // 00000000534C: D86C5940 44000004
	ds_read_b32 v69, v4 offset:27200                           // 000000005354: D86C6A40 45000004
	ds_read_b32 v70, v4 offset:22880                           // 00000000535C: D86C5960 46000004
	ds_read_b32 v71, v4 offset:27232                           // 000000005364: D86C6A60 47000004
	ds_read_b32 v72, v4 offset:31488                           // 00000000536C: D86C7B00 48000004
	ds_read_b32 v73, v4 offset:35840                           // 000000005374: D86C8C00 49000004
	ds_read_b32 v74, v4 offset:31520                           // 00000000537C: D86C7B20 4A000004
	ds_read_b32 v75, v4 offset:35872                           // 000000005384: D86C8C20 4B000004
	ds_read_b32 v76, v4 offset:31552                           // 00000000538C: D86C7B40 4C000004
	ds_read_b32 v77, v4 offset:35904                           // 000000005394: D86C8C40 4D000004
	ds_read_b32 v78, v4 offset:31584                           // 00000000539C: D86C7B60 4E000004
	ds_read_b32 v79, v4 offset:35936                           // 0000000053A4: D86C8C60 4F000004
	s_waitcnt lgkmcnt(0)                                       // 0000000053AC: BF8CC07F
	s_mov_b64 exec, s[20:21]                                   // 0000000053B0: BEFE0114
	global_atomic_pk_add_bf16 v80, v64, s[8:9]                 // 0000000053B4: DD488000 00084050
	s_mov_b64 exec, s[36:37]                                   // 0000000053BC: BEFE0124
	s_mov_b64 exec, s[20:21]                                   // 0000000053C0: BEFE0114
	global_atomic_pk_add_bf16 v80, v65, s[8:9] offset:256      // 0000000053C4: DD488100 00084150
	s_mov_b64 exec, s[36:37]                                   // 0000000053CC: BEFE0124
	s_mov_b64 exec, s[22:23]                                   // 0000000053D0: BEFE0116
	global_atomic_pk_add_bf16 v82, v66, s[8:9]                 // 0000000053D4: DD488000 00084252
	s_mov_b64 exec, s[36:37]                                   // 0000000053DC: BEFE0124
	s_mov_b64 exec, s[22:23]                                   // 0000000053E0: BEFE0116
	global_atomic_pk_add_bf16 v82, v67, s[8:9] offset:256      // 0000000053E4: DD488100 00084352
	s_mov_b64 exec, s[36:37]                                   // 0000000053EC: BEFE0124
	s_mov_b64 exec, s[24:25]                                   // 0000000053F0: BEFE0118
	global_atomic_pk_add_bf16 v84, v68, s[8:9]                 // 0000000053F4: DD488000 00084454
	s_mov_b64 exec, s[36:37]                                   // 0000000053FC: BEFE0124
	s_mov_b64 exec, s[24:25]                                   // 000000005400: BEFE0118
	global_atomic_pk_add_bf16 v84, v69, s[8:9] offset:256      // 000000005404: DD488100 00084554
	s_mov_b64 exec, s[36:37]                                   // 00000000540C: BEFE0124
	s_mov_b64 exec, s[26:27]                                   // 000000005410: BEFE011A
	global_atomic_pk_add_bf16 v86, v70, s[8:9]                 // 000000005414: DD488000 00084656
	s_mov_b64 exec, s[36:37]                                   // 00000000541C: BEFE0124
	s_mov_b64 exec, s[26:27]                                   // 000000005420: BEFE011A
	global_atomic_pk_add_bf16 v86, v71, s[8:9] offset:256      // 000000005424: DD488100 00084756
	s_mov_b64 exec, s[36:37]                                   // 00000000542C: BEFE0124
	s_mov_b64 exec, s[28:29]                                   // 000000005430: BEFE011C
	global_atomic_pk_add_bf16 v88, v72, s[8:9]                 // 000000005434: DD488000 00084858
	s_mov_b64 exec, s[36:37]                                   // 00000000543C: BEFE0124
	s_mov_b64 exec, s[28:29]                                   // 000000005440: BEFE011C
	global_atomic_pk_add_bf16 v88, v73, s[8:9] offset:256      // 000000005444: DD488100 00084958
	s_mov_b64 exec, s[36:37]                                   // 00000000544C: BEFE0124
	s_mov_b64 exec, s[30:31]                                   // 000000005450: BEFE011E
	global_atomic_pk_add_bf16 v90, v74, s[8:9]                 // 000000005454: DD488000 00084A5A
	s_mov_b64 exec, s[36:37]                                   // 00000000545C: BEFE0124
	s_mov_b64 exec, s[30:31]                                   // 000000005460: BEFE011E
	global_atomic_pk_add_bf16 v90, v75, s[8:9] offset:256      // 000000005464: DD488100 00084B5A
	s_mov_b64 exec, s[36:37]                                   // 00000000546C: BEFE0124
	s_mov_b64 exec, s[32:33]                                   // 000000005470: BEFE0120
	global_atomic_pk_add_bf16 v92, v76, s[8:9]                 // 000000005474: DD488000 00084C5C
	s_mov_b64 exec, s[36:37]                                   // 00000000547C: BEFE0124
	s_mov_b64 exec, s[32:33]                                   // 000000005480: BEFE0120
	global_atomic_pk_add_bf16 v92, v77, s[8:9] offset:256      // 000000005484: DD488100 00084D5C
	s_mov_b64 exec, s[36:37]                                   // 00000000548C: BEFE0124
	s_mov_b64 exec, s[34:35]                                   // 000000005490: BEFE0122
	global_atomic_pk_add_bf16 v94, v78, s[8:9]                 // 000000005494: DD488000 00084E5E
	s_mov_b64 exec, s[36:37]                                   // 00000000549C: BEFE0124
	s_mov_b64 exec, s[34:35]                                   // 0000000054A0: BEFE0122
	global_atomic_pk_add_bf16 v94, v79, s[8:9] offset:256      // 0000000054A4: DD488100 00084F5E
	s_mov_b64 exec, s[36:37]                                   // 0000000054AC: BEFE0124
	s_add_u32 s8, s59, s8                                      // 0000000054B0: 8008083B
	s_addc_u32 s9, 0, s9                                       // 0000000054B4: 82090980
	s_addk_i32 s80, 0x100                                      // 0000000054B8: B7500100
	s_cmp_lt_i32 s80, s81                                      // 0000000054BC: BF045150
	s_cbranch_scc0 label_0A72                                  // 0000000054C0: BF840001
	s_branch label_05FF                                        // 0000000054C4: BF82FB8D

00000000000054c8 <label_0A72>:
	s_nop 0                                                    // 0000000054C8: BF800000
	s_nop 0                                                    // 0000000054CC: BF800000
	s_branch label_12D5                                        // 0000000054D0: BF820860

00000000000054d4 <label_0A75>:
	s_waitcnt vmcnt(0) lgkmcnt(0)                              // 0000000054D4: BF8C0070
	s_barrier                                                  // 0000000054D8: BF8A0000
	v_mfma_f32_16x16x32_fp8_fp8 v[128:131], a[0:1], v[144:145], v[128:131]// 0000000054DC: D3F30080 0E032100
	buffer_load_dwordx4 a[32:35], v32, s[92:95], 0 offen       // 0000000054E4: E05C1000 80972020
	v_mfma_f32_16x16x32_fp8_fp8 v[128:131], a[2:3], v[146:147], v[128:131]// 0000000054EC: D3F30080 0E032502
	v_mfma_f32_16x16x32_fp8_fp8 v[128:131], a[4:5], v[148:149], v[128:131]// 0000000054F4: D3F30080 0E032904
	buffer_load_dword v24, s[20:23], 0 offen lds               // 0000000054FC: E0511000 80050018
	s_add_u32 m0, 0x100, s51                                   // 000000005504: 807C33FF 00000100
	v_mfma_f32_16x16x32_fp8_fp8 v[128:131], a[6:7], v[150:151], v[128:131]// 00000000550C: D3F30080 0E032D06
	v_mfma_f32_16x16x32_fp8_fp8 v[128:131], a[8:9], v[152:153], v[128:131]// 000000005514: D3F30080 0E033108
	buffer_load_dwordx4 a[36:39], v32, s[92:95], 0 offen offset:1024// 00000000551C: E05C1400 80972420
	v_mfma_f32_16x16x32_fp8_fp8 v[128:131], a[10:11], v[154:155], v[128:131]// 000000005524: D3F30080 0E03350A
	v_mfma_f32_16x16x32_fp8_fp8 v[128:131], a[12:13], v[156:157], v[128:131]// 00000000552C: D3F30080 0E03390C
	buffer_load_dword v25, s[20:23], 0 offen lds               // 000000005534: E0511000 80050019
	s_add_u32 m0, 0x200, s51                                   // 00000000553C: 807C33FF 00000200
	v_mfma_f32_16x16x32_fp8_fp8 v[128:131], a[14:15], v[158:159], v[128:131]// 000000005544: D3F30080 0E033D0E
	v_mfma_f32_16x16x32_fp8_fp8 v[132:135], a[0:1], v[160:161], v[132:135]// 00000000554C: D3F30084 0E134100
	buffer_load_dwordx4 a[40:43], v32, s[92:95], 0 offen offset:2048// 000000005554: E05C1800 80972820
	v_mfma_f32_16x16x32_fp8_fp8 v[132:135], a[2:3], v[162:163], v[132:135]// 00000000555C: D3F30084 0E134502
	v_mfma_f32_16x16x32_fp8_fp8 v[132:135], a[4:5], v[164:165], v[132:135]// 000000005564: D3F30084 0E134904
	buffer_load_dword v26, s[20:23], 0 offen lds               // 00000000556C: E0511000 8005001A
	s_add_u32 m0, 0x300, s51                                   // 000000005574: 807C33FF 00000300
	v_mfma_f32_16x16x32_fp8_fp8 v[132:135], a[6:7], v[166:167], v[132:135]// 00000000557C: D3F30084 0E134D06
	v_mfma_f32_16x16x32_fp8_fp8 v[132:135], a[8:9], v[168:169], v[132:135]// 000000005584: D3F30084 0E135108
	buffer_load_dwordx4 a[44:47], v32, s[92:95], 0 offen offset:3072// 00000000558C: E05C1C00 80972C20
	v_mfma_f32_16x16x32_fp8_fp8 v[132:135], a[10:11], v[170:171], v[132:135]// 000000005594: D3F30084 0E13550A
	v_mfma_f32_16x16x32_fp8_fp8 v[132:135], a[12:13], v[172:173], v[132:135]// 00000000559C: D3F30084 0E13590C
	buffer_load_dword v27, s[20:23], 0 offen lds               // 0000000055A4: E0511000 8005001B
	s_add_u32 m0, 0x400, s51                                   // 0000000055AC: 807C33FF 00000400
	v_mfma_f32_16x16x32_fp8_fp8 v[132:135], a[14:15], v[174:175], v[132:135]// 0000000055B4: D3F30084 0E135D0E
	v_mfma_f32_16x16x32_fp8_fp8 v[136:139], a[16:17], v[144:145], v[136:139]// 0000000055BC: D3F30088 0E232110
	buffer_load_dwordx4 a[48:51], v33, s[92:95], 0 offen       // 0000000055C4: E05C1000 80973021
	v_mfma_f32_16x16x32_fp8_fp8 v[136:139], a[18:19], v[146:147], v[136:139]// 0000000055CC: D3F30088 0E232512
	v_mfma_f32_16x16x32_fp8_fp8 v[136:139], a[20:21], v[148:149], v[136:139]// 0000000055D4: D3F30088 0E232914
	buffer_load_dword v28, s[20:23], 0 offen lds               // 0000000055DC: E0511000 8005001C
	s_add_u32 m0, 0x500, s51                                   // 0000000055E4: 807C33FF 00000500
	v_mfma_f32_16x16x32_fp8_fp8 v[136:139], a[22:23], v[150:151], v[136:139]// 0000000055EC: D3F30088 0E232D16
	v_mfma_f32_16x16x32_fp8_fp8 v[136:139], a[24:25], v[152:153], v[136:139]// 0000000055F4: D3F30088 0E233118
	buffer_load_dwordx4 a[52:55], v33, s[92:95], 0 offen offset:1024// 0000000055FC: E05C1400 80973421
	v_mfma_f32_16x16x32_fp8_fp8 v[136:139], a[26:27], v[154:155], v[136:139]// 000000005604: D3F30088 0E23351A
	v_mfma_f32_16x16x32_fp8_fp8 v[136:139], a[28:29], v[156:157], v[136:139]// 00000000560C: D3F30088 0E23391C
	buffer_load_dword v29, s[20:23], 0 offen lds               // 000000005614: E0511000 8005001D
	s_add_u32 m0, 0x600, s51                                   // 00000000561C: 807C33FF 00000600
	v_mfma_f32_16x16x32_fp8_fp8 v[136:139], a[30:31], v[158:159], v[136:139]// 000000005624: D3F30088 0E233D1E
	v_mfma_f32_16x16x32_fp8_fp8 v[140:143], a[16:17], v[160:161], v[140:143]// 00000000562C: D3F3008C 0E334110
	buffer_load_dwordx4 a[56:59], v33, s[92:95], 0 offen offset:2048// 000000005634: E05C1800 80973821
	v_mfma_f32_16x16x32_fp8_fp8 v[140:143], a[18:19], v[162:163], v[140:143]// 00000000563C: D3F3008C 0E334512
	v_mfma_f32_16x16x32_fp8_fp8 v[140:143], a[20:21], v[164:165], v[140:143]// 000000005644: D3F3008C 0E334914
	buffer_load_dword v30, s[20:23], 0 offen lds               // 00000000564C: E0511000 8005001E
	s_add_u32 m0, 0x700, s51                                   // 000000005654: 807C33FF 00000700
	v_mfma_f32_16x16x32_fp8_fp8 v[140:143], a[22:23], v[166:167], v[140:143]// 00000000565C: D3F3008C 0E334D16
	v_mfma_f32_16x16x32_fp8_fp8 v[140:143], a[24:25], v[168:169], v[140:143]// 000000005664: D3F3008C 0E335118
	buffer_load_dwordx4 a[60:63], v33, s[92:95], 0 offen offset:3072// 00000000566C: E05C1C00 80973C21
	v_mfma_f32_16x16x32_fp8_fp8 v[140:143], a[26:27], v[170:171], v[140:143]// 000000005674: D3F3008C 0E33551A
	v_mfma_f32_16x16x32_fp8_fp8 v[140:143], a[28:29], v[172:173], v[140:143]// 00000000567C: D3F3008C 0E33591C
	buffer_load_dword v31, s[20:23], 0 offen lds               // 000000005684: E0511000 8005001F
	s_add_u32 m0, 0, s50                                       // 00000000568C: 807C3280
	v_mfma_f32_16x16x32_fp8_fp8 v[140:143], a[30:31], v[174:175], v[140:143]// 000000005690: D3F3008C 0E335D1E
	s_waitcnt vmcnt(0)                                         // 000000005698: BF8C0F70
	s_barrier                                                  // 00000000569C: BF8A0000
	v_mfma_f32_16x16x32_fp8_fp8 v[64:67], a[32:33], v[144:145], v[64:67]// 0000000056A0: D3F30040 0D032120
	buffer_load_dwordx4 a[0:3], v32, s[24:27], 0 offen         // 0000000056A8: E05C1000 80860020
	v_mfma_f32_16x16x32_fp8_fp8 v[64:67], a[34:35], v[146:147], v[64:67]// 0000000056B0: D3F30040 0D032522
	v_mfma_f32_16x16x32_fp8_fp8 v[64:67], a[36:37], v[148:149], v[64:67]// 0000000056B8: D3F30040 0D032924
	ds_read_b128 v[176:179], v2 offset:8320                    // 0000000056C0: D9FE2080 B0000002
	v_mfma_f32_16x16x32_fp8_fp8 v[64:67], a[38:39], v[150:151], v[64:67]// 0000000056C8: D3F30040 0D032D26
	v_mfma_f32_16x16x32_fp8_fp8 v[64:67], a[40:41], v[152:153], v[64:67]// 0000000056D0: D3F30040 0D033128
	buffer_load_dwordx4 a[4:7], v32, s[24:27], 0 offen offset:1024// 0000000056D8: E05C1400 80860420
	v_mfma_f32_16x16x32_fp8_fp8 v[64:67], a[42:43], v[154:155], v[64:67]// 0000000056E0: D3F30040 0D03352A
	v_mfma_f32_16x16x32_fp8_fp8 v[64:67], a[44:45], v[156:157], v[64:67]// 0000000056E8: D3F30040 0D03392C
	ds_read_b128 v[180:183], v2 offset:8384                    // 0000000056F0: D9FE20C0 B4000002
	v_mfma_f32_16x16x32_fp8_fp8 v[64:67], a[46:47], v[158:159], v[64:67]// 0000000056F8: D3F30040 0D033D2E
	v_mfma_f32_16x16x32_fp8_fp8 v[68:71], a[32:33], v[160:161], v[68:71]// 000000005700: D3F30044 0D134120
	buffer_load_dwordx4 a[8:11], v32, s[24:27], 0 offen offset:2048// 000000005708: E05C1800 80860820
	v_mfma_f32_16x16x32_fp8_fp8 v[68:71], a[34:35], v[162:163], v[68:71]// 000000005710: D3F30044 0D134522
	v_mfma_f32_16x16x32_fp8_fp8 v[68:71], a[36:37], v[164:165], v[68:71]// 000000005718: D3F30044 0D134924
	ds_read_b128 v[184:187], v2 offset:8448                    // 000000005720: D9FE2100 B8000002
	v_mfma_f32_16x16x32_fp8_fp8 v[68:71], a[38:39], v[166:167], v[68:71]// 000000005728: D3F30044 0D134D26
	v_mfma_f32_16x16x32_fp8_fp8 v[68:71], a[40:41], v[168:169], v[68:71]// 000000005730: D3F30044 0D135128
	buffer_load_dwordx4 a[12:15], v32, s[24:27], 0 offen offset:3072// 000000005738: E05C1C00 80860C20
	v_mfma_f32_16x16x32_fp8_fp8 v[68:71], a[42:43], v[170:171], v[68:71]// 000000005740: D3F30044 0D13552A
	v_mfma_f32_16x16x32_fp8_fp8 v[68:71], a[44:45], v[172:173], v[68:71]// 000000005748: D3F30044 0D13592C
	ds_read_b128 v[188:191], v2 offset:8512                    // 000000005750: D9FE2140 BC000002
	v_mfma_f32_16x16x32_fp8_fp8 v[68:71], a[46:47], v[174:175], v[68:71]// 000000005758: D3F30044 0D135D2E
	v_mfma_f32_16x16x32_fp8_fp8 v[72:75], a[48:49], v[144:145], v[72:75]// 000000005760: D3F30048 0D232130
	buffer_load_dwordx4 a[16:19], v33, s[24:27], 0 offen       // 000000005768: E05C1000 80861021
	v_mfma_f32_16x16x32_fp8_fp8 v[72:75], a[50:51], v[146:147], v[72:75]// 000000005770: D3F30048 0D232532
	v_mfma_f32_16x16x32_fp8_fp8 v[72:75], a[52:53], v[148:149], v[72:75]// 000000005778: D3F30048 0D232934
	ds_read_b128 v[192:195], v2 offset:9344                    // 000000005780: D9FE2480 C0000002
	v_mfma_f32_16x16x32_fp8_fp8 v[72:75], a[54:55], v[150:151], v[72:75]// 000000005788: D3F30048 0D232D36
	v_mfma_f32_16x16x32_fp8_fp8 v[72:75], a[56:57], v[152:153], v[72:75]// 000000005790: D3F30048 0D233138
	buffer_load_dwordx4 a[20:23], v33, s[24:27], 0 offen offset:1024// 000000005798: E05C1400 80861421
	v_mfma_f32_16x16x32_fp8_fp8 v[72:75], a[58:59], v[154:155], v[72:75]// 0000000057A0: D3F30048 0D23353A
	v_mfma_f32_16x16x32_fp8_fp8 v[72:75], a[60:61], v[156:157], v[72:75]// 0000000057A8: D3F30048 0D23393C
	ds_read_b128 v[196:199], v2 offset:9408                    // 0000000057B0: D9FE24C0 C4000002
	v_mfma_f32_16x16x32_fp8_fp8 v[72:75], a[62:63], v[158:159], v[72:75]// 0000000057B8: D3F30048 0D233D3E
	v_mfma_f32_16x16x32_fp8_fp8 v[76:79], a[48:49], v[160:161], v[76:79]// 0000000057C0: D3F3004C 0D334130
	buffer_load_dwordx4 a[24:27], v33, s[24:27], 0 offen offset:2048// 0000000057C8: E05C1800 80861821
	v_mfma_f32_16x16x32_fp8_fp8 v[76:79], a[50:51], v[162:163], v[76:79]// 0000000057D0: D3F3004C 0D334532
	v_mfma_f32_16x16x32_fp8_fp8 v[76:79], a[52:53], v[164:165], v[76:79]// 0000000057D8: D3F3004C 0D334934
	ds_read_b128 v[200:203], v2 offset:9472                    // 0000000057E0: D9FE2500 C8000002
	v_mfma_f32_16x16x32_fp8_fp8 v[76:79], a[54:55], v[166:167], v[76:79]// 0000000057E8: D3F3004C 0D334D36
	v_mfma_f32_16x16x32_fp8_fp8 v[76:79], a[56:57], v[168:169], v[76:79]// 0000000057F0: D3F3004C 0D335138
	buffer_load_dwordx4 a[28:31], v33, s[24:27], 0 offen offset:3072// 0000000057F8: E05C1C00 80861C21
	v_mfma_f32_16x16x32_fp8_fp8 v[76:79], a[58:59], v[170:171], v[76:79]// 000000005800: D3F3004C 0D33553A
	v_mfma_f32_16x16x32_fp8_fp8 v[76:79], a[60:61], v[172:173], v[76:79]// 000000005808: D3F3004C 0D33593C
	ds_read_b128 v[204:207], v2 offset:9536                    // 000000005810: D9FE2540 CC000002
	v_mfma_f32_16x16x32_fp8_fp8 v[76:79], a[62:63], v[174:175], v[76:79]// 000000005818: D3F3004C 0D335D3E
	s_add_u32 s60, 0x200, s80                                  // 000000005820: 803C50FF 00000200
	s_cmp_lt_u32 s60, s81                                      // 000000005828: BF0A513C
	s_cselect_b32 s57, s57, 0                                  // 00000000582C: 85398039
	s_add_u32 s60, 0x200, s80                                  // 000000005830: 803C50FF 00000200
	s_cmp_lt_u32 s60, s81                                      // 000000005838: BF0A513C
	s_cselect_b32 s58, s58, 0                                  // 00000000583C: 853A803A
	s_add_u32 s20, s57, s20                                    // 000000005840: 80141439
	s_addc_u32 s21, 0, s21                                     // 000000005844: 82151580
	s_add_u32 s24, s58, s24                                    // 000000005848: 8018183A
	s_addc_u32 s25, 0, s25                                     // 00000000584C: 82191980
	s_add_u32 s92, s90, s92                                    // 000000005850: 805C5C5A
	s_addc_u32 s93, 0, s93                                     // 000000005854: 825D5D80
	s_addk_i32 s80, 0x100                                      // 000000005858: B7500100
	s_cmp_lt_i32 s80, s81                                      // 00000000585C: BF045150
	s_cbranch_scc0 label_0C3E                                  // 000000005860: BF8400E5
	s_waitcnt vmcnt(0) lgkmcnt(0)                              // 000000005864: BF8C0070
	s_barrier                                                  // 000000005868: BF8A0000
	v_mfma_f32_16x16x32_fp8_fp8 v[128:131], a[0:1], v[176:177], v[128:131]// 00000000586C: D3F30080 0E036100
	buffer_load_dwordx4 a[32:35], v32, s[92:95], 0 offen       // 000000005874: E05C1000 80972020
	v_mfma_f32_16x16x32_fp8_fp8 v[128:131], a[2:3], v[178:179], v[128:131]// 00000000587C: D3F30080 0E036502
	v_mfma_f32_16x16x32_fp8_fp8 v[128:131], a[4:5], v[180:181], v[128:131]// 000000005884: D3F30080 0E036904
	buffer_load_dword v24, s[20:23], 0 offen lds               // 00000000588C: E0511000 80050018
	s_add_u32 m0, 0x100, s50                                   // 000000005894: 807C32FF 00000100
	v_mfma_f32_16x16x32_fp8_fp8 v[128:131], a[6:7], v[182:183], v[128:131]// 00000000589C: D3F30080 0E036D06
	v_mfma_f32_16x16x32_fp8_fp8 v[128:131], a[8:9], v[184:185], v[128:131]// 0000000058A4: D3F30080 0E037108
	buffer_load_dwordx4 a[36:39], v32, s[92:95], 0 offen offset:1024// 0000000058AC: E05C1400 80972420
	v_mfma_f32_16x16x32_fp8_fp8 v[128:131], a[10:11], v[186:187], v[128:131]// 0000000058B4: D3F30080 0E03750A
	v_mfma_f32_16x16x32_fp8_fp8 v[128:131], a[12:13], v[188:189], v[128:131]// 0000000058BC: D3F30080 0E03790C
	buffer_load_dword v25, s[20:23], 0 offen lds               // 0000000058C4: E0511000 80050019
	s_add_u32 m0, 0x200, s50                                   // 0000000058CC: 807C32FF 00000200
	v_mfma_f32_16x16x32_fp8_fp8 v[128:131], a[14:15], v[190:191], v[128:131]// 0000000058D4: D3F30080 0E037D0E
	v_mfma_f32_16x16x32_fp8_fp8 v[132:135], a[0:1], v[192:193], v[132:135]// 0000000058DC: D3F30084 0E138100
	buffer_load_dwordx4 a[40:43], v32, s[92:95], 0 offen offset:2048// 0000000058E4: E05C1800 80972820
	v_mfma_f32_16x16x32_fp8_fp8 v[132:135], a[2:3], v[194:195], v[132:135]// 0000000058EC: D3F30084 0E138502
	v_mfma_f32_16x16x32_fp8_fp8 v[132:135], a[4:5], v[196:197], v[132:135]// 0000000058F4: D3F30084 0E138904
	buffer_load_dword v26, s[20:23], 0 offen lds               // 0000000058FC: E0511000 8005001A
	s_add_u32 m0, 0x300, s50                                   // 000000005904: 807C32FF 00000300
	v_mfma_f32_16x16x32_fp8_fp8 v[132:135], a[6:7], v[198:199], v[132:135]// 00000000590C: D3F30084 0E138D06
	v_mfma_f32_16x16x32_fp8_fp8 v[132:135], a[8:9], v[200:201], v[132:135]// 000000005914: D3F30084 0E139108
	buffer_load_dwordx4 a[44:47], v32, s[92:95], 0 offen offset:3072// 00000000591C: E05C1C00 80972C20
	v_mfma_f32_16x16x32_fp8_fp8 v[132:135], a[10:11], v[202:203], v[132:135]// 000000005924: D3F30084 0E13950A
	v_mfma_f32_16x16x32_fp8_fp8 v[132:135], a[12:13], v[204:205], v[132:135]// 00000000592C: D3F30084 0E13990C
	buffer_load_dword v27, s[20:23], 0 offen lds               // 000000005934: E0511000 8005001B
	s_add_u32 m0, 0x400, s50                                   // 00000000593C: 807C32FF 00000400
	v_mfma_f32_16x16x32_fp8_fp8 v[132:135], a[14:15], v[206:207], v[132:135]// 000000005944: D3F30084 0E139D0E
	v_mfma_f32_16x16x32_fp8_fp8 v[136:139], a[16:17], v[176:177], v[136:139]// 00000000594C: D3F30088 0E236110
	buffer_load_dwordx4 a[48:51], v33, s[92:95], 0 offen       // 000000005954: E05C1000 80973021
	v_mfma_f32_16x16x32_fp8_fp8 v[136:139], a[18:19], v[178:179], v[136:139]// 00000000595C: D3F30088 0E236512
	v_mfma_f32_16x16x32_fp8_fp8 v[136:139], a[20:21], v[180:181], v[136:139]// 000000005964: D3F30088 0E236914
	buffer_load_dword v28, s[20:23], 0 offen lds               // 00000000596C: E0511000 8005001C
	s_add_u32 m0, 0x500, s50                                   // 000000005974: 807C32FF 00000500
	v_mfma_f32_16x16x32_fp8_fp8 v[136:139], a[22:23], v[182:183], v[136:139]// 00000000597C: D3F30088 0E236D16
	v_mfma_f32_16x16x32_fp8_fp8 v[136:139], a[24:25], v[184:185], v[136:139]// 000000005984: D3F30088 0E237118
	buffer_load_dwordx4 a[52:55], v33, s[92:95], 0 offen offset:1024// 00000000598C: E05C1400 80973421
	v_mfma_f32_16x16x32_fp8_fp8 v[136:139], a[26:27], v[186:187], v[136:139]// 000000005994: D3F30088 0E23751A
	v_mfma_f32_16x16x32_fp8_fp8 v[136:139], a[28:29], v[188:189], v[136:139]// 00000000599C: D3F30088 0E23791C
	buffer_load_dword v29, s[20:23], 0 offen lds               // 0000000059A4: E0511000 8005001D
	s_add_u32 m0, 0x600, s50                                   // 0000000059AC: 807C32FF 00000600
	v_mfma_f32_16x16x32_fp8_fp8 v[136:139], a[30:31], v[190:191], v[136:139]// 0000000059B4: D3F30088 0E237D1E
	v_mfma_f32_16x16x32_fp8_fp8 v[140:143], a[16:17], v[192:193], v[140:143]// 0000000059BC: D3F3008C 0E338110
	buffer_load_dwordx4 a[56:59], v33, s[92:95], 0 offen offset:2048// 0000000059C4: E05C1800 80973821
	v_mfma_f32_16x16x32_fp8_fp8 v[140:143], a[18:19], v[194:195], v[140:143]// 0000000059CC: D3F3008C 0E338512
	v_mfma_f32_16x16x32_fp8_fp8 v[140:143], a[20:21], v[196:197], v[140:143]// 0000000059D4: D3F3008C 0E338914
	buffer_load_dword v30, s[20:23], 0 offen lds               // 0000000059DC: E0511000 8005001E
	s_add_u32 m0, 0x700, s50                                   // 0000000059E4: 807C32FF 00000700
	v_mfma_f32_16x16x32_fp8_fp8 v[140:143], a[22:23], v[198:199], v[140:143]// 0000000059EC: D3F3008C 0E338D16
	v_mfma_f32_16x16x32_fp8_fp8 v[140:143], a[24:25], v[200:201], v[140:143]// 0000000059F4: D3F3008C 0E339118
	buffer_load_dwordx4 a[60:63], v33, s[92:95], 0 offen offset:3072// 0000000059FC: E05C1C00 80973C21
	v_mfma_f32_16x16x32_fp8_fp8 v[140:143], a[26:27], v[202:203], v[140:143]// 000000005A04: D3F3008C 0E33951A
	v_mfma_f32_16x16x32_fp8_fp8 v[140:143], a[28:29], v[204:205], v[140:143]// 000000005A0C: D3F3008C 0E33991C
	buffer_load_dword v31, s[20:23], 0 offen lds               // 000000005A14: E0511000 8005001F
	s_add_u32 m0, 0, s51                                       // 000000005A1C: 807C3380
	v_mfma_f32_16x16x32_fp8_fp8 v[140:143], a[30:31], v[206:207], v[140:143]// 000000005A20: D3F3008C 0E339D1E
	s_waitcnt vmcnt(0)                                         // 000000005A28: BF8C0F70
	s_barrier                                                  // 000000005A2C: BF8A0000
	v_mfma_f32_16x16x32_fp8_fp8 v[64:67], a[32:33], v[176:177], v[64:67]// 000000005A30: D3F30040 0D036120
	buffer_load_dwordx4 a[0:3], v32, s[24:27], 0 offen         // 000000005A38: E05C1000 80860020
	v_mfma_f32_16x16x32_fp8_fp8 v[64:67], a[34:35], v[178:179], v[64:67]// 000000005A40: D3F30040 0D036522
	v_mfma_f32_16x16x32_fp8_fp8 v[64:67], a[36:37], v[180:181], v[64:67]// 000000005A48: D3F30040 0D036924
	ds_read_b128 v[144:147], v2                                // 000000005A50: D9FE0000 90000002
	v_mfma_f32_16x16x32_fp8_fp8 v[64:67], a[38:39], v[182:183], v[64:67]// 000000005A58: D3F30040 0D036D26
	v_mfma_f32_16x16x32_fp8_fp8 v[64:67], a[40:41], v[184:185], v[64:67]// 000000005A60: D3F30040 0D037128
	buffer_load_dwordx4 a[4:7], v32, s[24:27], 0 offen offset:1024// 000000005A68: E05C1400 80860420
	v_mfma_f32_16x16x32_fp8_fp8 v[64:67], a[42:43], v[186:187], v[64:67]// 000000005A70: D3F30040 0D03752A
	v_mfma_f32_16x16x32_fp8_fp8 v[64:67], a[44:45], v[188:189], v[64:67]// 000000005A78: D3F30040 0D03792C
	ds_read_b128 v[148:151], v2 offset:64                      // 000000005A80: D9FE0040 94000002
	v_mfma_f32_16x16x32_fp8_fp8 v[64:67], a[46:47], v[190:191], v[64:67]// 000000005A88: D3F30040 0D037D2E
	v_mfma_f32_16x16x32_fp8_fp8 v[68:71], a[32:33], v[192:193], v[68:71]// 000000005A90: D3F30044 0D138120
	buffer_load_dwordx4 a[8:11], v32, s[24:27], 0 offen offset:2048// 000000005A98: E05C1800 80860820
	v_mfma_f32_16x16x32_fp8_fp8 v[68:71], a[34:35], v[194:195], v[68:71]// 000000005AA0: D3F30044 0D138522
	v_mfma_f32_16x16x32_fp8_fp8 v[68:71], a[36:37], v[196:197], v[68:71]// 000000005AA8: D3F30044 0D138924
	ds_read_b128 v[152:155], v2 offset:128                     // 000000005AB0: D9FE0080 98000002
	v_mfma_f32_16x16x32_fp8_fp8 v[68:71], a[38:39], v[198:199], v[68:71]// 000000005AB8: D3F30044 0D138D26
	v_mfma_f32_16x16x32_fp8_fp8 v[68:71], a[40:41], v[200:201], v[68:71]// 000000005AC0: D3F30044 0D139128
	buffer_load_dwordx4 a[12:15], v32, s[24:27], 0 offen offset:3072// 000000005AC8: E05C1C00 80860C20
	v_mfma_f32_16x16x32_fp8_fp8 v[68:71], a[42:43], v[202:203], v[68:71]// 000000005AD0: D3F30044 0D13952A
	v_mfma_f32_16x16x32_fp8_fp8 v[68:71], a[44:45], v[204:205], v[68:71]// 000000005AD8: D3F30044 0D13992C
	ds_read_b128 v[156:159], v2 offset:192                     // 000000005AE0: D9FE00C0 9C000002
	v_mfma_f32_16x16x32_fp8_fp8 v[68:71], a[46:47], v[206:207], v[68:71]// 000000005AE8: D3F30044 0D139D2E
	v_mfma_f32_16x16x32_fp8_fp8 v[72:75], a[48:49], v[176:177], v[72:75]// 000000005AF0: D3F30048 0D236130
	buffer_load_dwordx4 a[16:19], v33, s[24:27], 0 offen       // 000000005AF8: E05C1000 80861021
	v_mfma_f32_16x16x32_fp8_fp8 v[72:75], a[50:51], v[178:179], v[72:75]// 000000005B00: D3F30048 0D236532
	v_mfma_f32_16x16x32_fp8_fp8 v[72:75], a[52:53], v[180:181], v[72:75]// 000000005B08: D3F30048 0D236934
	ds_read_b128 v[160:163], v2 offset:1024                    // 000000005B10: D9FE0400 A0000002
	v_mfma_f32_16x16x32_fp8_fp8 v[72:75], a[54:55], v[182:183], v[72:75]// 000000005B18: D3F30048 0D236D36
	v_mfma_f32_16x16x32_fp8_fp8 v[72:75], a[56:57], v[184:185], v[72:75]// 000000005B20: D3F30048 0D237138
	buffer_load_dwordx4 a[20:23], v33, s[24:27], 0 offen offset:1024// 000000005B28: E05C1400 80861421
	v_mfma_f32_16x16x32_fp8_fp8 v[72:75], a[58:59], v[186:187], v[72:75]// 000000005B30: D3F30048 0D23753A
	v_mfma_f32_16x16x32_fp8_fp8 v[72:75], a[60:61], v[188:189], v[72:75]// 000000005B38: D3F30048 0D23793C
	ds_read_b128 v[164:167], v2 offset:1088                    // 000000005B40: D9FE0440 A4000002
	v_mfma_f32_16x16x32_fp8_fp8 v[72:75], a[62:63], v[190:191], v[72:75]// 000000005B48: D3F30048 0D237D3E
	v_mfma_f32_16x16x32_fp8_fp8 v[76:79], a[48:49], v[192:193], v[76:79]// 000000005B50: D3F3004C 0D338130
	buffer_load_dwordx4 a[24:27], v33, s[24:27], 0 offen offset:2048// 000000005B58: E05C1800 80861821
	v_mfma_f32_16x16x32_fp8_fp8 v[76:79], a[50:51], v[194:195], v[76:79]// 000000005B60: D3F3004C 0D338532
	v_mfma_f32_16x16x32_fp8_fp8 v[76:79], a[52:53], v[196:197], v[76:79]// 000000005B68: D3F3004C 0D338934
	ds_read_b128 v[168:171], v2 offset:1152                    // 000000005B70: D9FE0480 A8000002
	v_mfma_f32_16x16x32_fp8_fp8 v[76:79], a[54:55], v[198:199], v[76:79]// 000000005B78: D3F3004C 0D338D36
	v_mfma_f32_16x16x32_fp8_fp8 v[76:79], a[56:57], v[200:201], v[76:79]// 000000005B80: D3F3004C 0D339138
	buffer_load_dwordx4 a[28:31], v33, s[24:27], 0 offen offset:3072// 000000005B88: E05C1C00 80861C21
	v_mfma_f32_16x16x32_fp8_fp8 v[76:79], a[58:59], v[202:203], v[76:79]// 000000005B90: D3F3004C 0D33953A
	v_mfma_f32_16x16x32_fp8_fp8 v[76:79], a[60:61], v[204:205], v[76:79]// 000000005B98: D3F3004C 0D33993C
	ds_read_b128 v[172:175], v2 offset:1216                    // 000000005BA0: D9FE04C0 AC000002
	v_mfma_f32_16x16x32_fp8_fp8 v[76:79], a[62:63], v[206:207], v[76:79]// 000000005BA8: D3F3004C 0D339D3E
	s_add_u32 s60, 0x200, s80                                  // 000000005BB0: 803C50FF 00000200
	s_cmp_lt_u32 s60, s81                                      // 000000005BB8: BF0A513C
	s_cselect_b32 s57, s57, 0                                  // 000000005BBC: 85398039
	s_add_u32 s60, 0x200, s80                                  // 000000005BC0: 803C50FF 00000200
	s_cmp_lt_u32 s60, s81                                      // 000000005BC8: BF0A513C
	s_cselect_b32 s58, s58, 0                                  // 000000005BCC: 853A803A
	s_add_u32 s20, s57, s20                                    // 000000005BD0: 80141439
	s_addc_u32 s21, 0, s21                                     // 000000005BD4: 82151580
	s_add_u32 s24, s58, s24                                    // 000000005BD8: 8018183A
	s_addc_u32 s25, 0, s25                                     // 000000005BDC: 82191980
	s_add_u32 s92, s90, s92                                    // 000000005BE0: 805C5C5A
	s_addc_u32 s93, 0, s93                                     // 000000005BE4: 825D5D80
	s_addk_i32 s80, 0x100                                      // 000000005BE8: B7500100
	s_cmp_lt_i32 s80, s81                                      // 000000005BEC: BF045150
	s_cbranch_scc0 label_0C3E                                  // 000000005BF0: BF840001
	s_branch label_0A75                                        // 000000005BF4: BF82FE37

0000000000005bf8 <label_0C3E>:
	s_mov_b32 s36, -1                                          // 000000005BF8: BEA400C1
	s_mov_b32 s37, -1                                          // 000000005BFC: BEA500C1
	s_mov_b64 s[60:61], 0                                      // 000000005C00: BEBC0180
	s_cmp_lt_u32 s82, s66                                      // 000000005C04: BF0A4252
	s_cselect_b64 s[20:21], s[36:37], s[60:61]                 // 000000005C08: 85943C24
	s_cmp_lt_u32 s83, s66                                      // 000000005C0C: BF0A4253
	s_cselect_b64 s[22:23], s[36:37], s[60:61]                 // 000000005C10: 85963C24
	s_cmp_lt_u32 s84, s66                                      // 000000005C14: BF0A4254
	s_cselect_b64 s[24:25], s[36:37], s[60:61]                 // 000000005C18: 85983C24
	s_cmp_lt_u32 s85, s66                                      // 000000005C1C: BF0A4255
	s_cselect_b64 s[26:27], s[36:37], s[60:61]                 // 000000005C20: 859A3C24
	s_cmp_lt_u32 s86, s66                                      // 000000005C24: BF0A4256
	s_cselect_b64 s[28:29], s[36:37], s[60:61]                 // 000000005C28: 859C3C24
	s_cmp_lt_u32 s87, s66                                      // 000000005C2C: BF0A4257
	s_cselect_b64 s[30:31], s[36:37], s[60:61]                 // 000000005C30: 859E3C24
	s_cmp_lt_u32 s88, s66                                      // 000000005C34: BF0A4258
	s_cselect_b64 s[32:33], s[36:37], s[60:61]                 // 000000005C38: 85A03C24
	s_cmp_lt_u32 s89, s66                                      // 000000005C3C: BF0A4259
	s_cselect_b64 s[34:35], s[36:37], s[60:61]                 // 000000005C40: 85A23C24
	v_mul_f32_e32 v128, v13, v128                              // 000000005C44: 0B01010D
	v_mul_f32_e32 v129, v13, v129                              // 000000005C48: 0B03030D
	v_mul_f32_e32 v130, v13, v130                              // 000000005C4C: 0B05050D
	v_mul_f32_e32 v131, v13, v131                              // 000000005C50: 0B07070D
	v_mul_f32_dpp v128, v15, v128 row_newbcast:0 row_mask:0xf bank_mask:0xf// 000000005C54: 0B0100FA FF01500F
	v_mul_f32_dpp v129, v15, v129 row_newbcast:1 row_mask:0xf bank_mask:0xf// 000000005C5C: 0B0302FA FF01510F
	v_mul_f32_dpp v130, v15, v130 row_newbcast:2 row_mask:0xf bank_mask:0xf// 000000005C64: 0B0504FA FF01520F
	v_mul_f32_dpp v131, v15, v131 row_newbcast:3 row_mask:0xf bank_mask:0xf// 000000005C6C: 0B0706FA FF01530F
	v_mul_f32_e32 v132, v14, v132                              // 000000005C74: 0B09090E
	v_mul_f32_e32 v133, v14, v133                              // 000000005C78: 0B0B0B0E
	v_mul_f32_e32 v134, v14, v134                              // 000000005C7C: 0B0D0D0E
	v_mul_f32_e32 v135, v14, v135                              // 000000005C80: 0B0F0F0E
	v_mul_f32_dpp v132, v15, v132 row_newbcast:0 row_mask:0xf bank_mask:0xf// 000000005C84: 0B0908FA FF01500F
	v_mul_f32_dpp v133, v15, v133 row_newbcast:1 row_mask:0xf bank_mask:0xf// 000000005C8C: 0B0B0AFA FF01510F
	v_mul_f32_dpp v134, v15, v134 row_newbcast:2 row_mask:0xf bank_mask:0xf// 000000005C94: 0B0D0CFA FF01520F
	v_mul_f32_dpp v135, v15, v135 row_newbcast:3 row_mask:0xf bank_mask:0xf// 000000005C9C: 0B0F0EFA FF01530F
	v_mul_f32_e32 v136, v13, v136                              // 000000005CA4: 0B11110D
	v_mul_f32_e32 v137, v13, v137                              // 000000005CA8: 0B13130D
	v_mul_f32_e32 v138, v13, v138                              // 000000005CAC: 0B15150D
	v_mul_f32_e32 v139, v13, v139                              // 000000005CB0: 0B17170D
	v_mul_f32_dpp v136, v15, v136 row_newbcast:4 row_mask:0xf bank_mask:0xf// 000000005CB4: 0B1110FA FF01540F
	v_mul_f32_dpp v137, v15, v137 row_newbcast:5 row_mask:0xf bank_mask:0xf// 000000005CBC: 0B1312FA FF01550F
	v_mul_f32_dpp v138, v15, v138 row_newbcast:6 row_mask:0xf bank_mask:0xf// 000000005CC4: 0B1514FA FF01560F
	v_mul_f32_dpp v139, v15, v139 row_newbcast:7 row_mask:0xf bank_mask:0xf// 000000005CCC: 0B1716FA FF01570F
	v_mul_f32_e32 v140, v14, v140                              // 000000005CD4: 0B19190E
	v_mul_f32_e32 v141, v14, v141                              // 000000005CD8: 0B1B1B0E
	v_mul_f32_e32 v142, v14, v142                              // 000000005CDC: 0B1D1D0E
	v_mul_f32_e32 v143, v14, v143                              // 000000005CE0: 0B1F1F0E
	v_mul_f32_dpp v140, v15, v140 row_newbcast:4 row_mask:0xf bank_mask:0xf// 000000005CE4: 0B1918FA FF01540F
	v_mul_f32_dpp v141, v15, v141 row_newbcast:5 row_mask:0xf bank_mask:0xf// 000000005CEC: 0B1B1AFA FF01550F
	v_mul_f32_dpp v142, v15, v142 row_newbcast:6 row_mask:0xf bank_mask:0xf// 000000005CF4: 0B1D1CFA FF01560F
	v_mul_f32_dpp v143, v15, v143 row_newbcast:7 row_mask:0xf bank_mask:0xf// 000000005CFC: 0B1F1EFA FF01570F
	v_mul_f32_e32 v64, v13, v64                                // 000000005D04: 0A80810D
	v_mul_f32_e32 v65, v13, v65                                // 000000005D08: 0A82830D
	v_mul_f32_e32 v66, v13, v66                                // 000000005D0C: 0A84850D
	v_mul_f32_e32 v67, v13, v67                                // 000000005D10: 0A86870D
	v_mul_f32_dpp v64, v42, v64 row_newbcast:0 row_mask:0xf bank_mask:0xf// 000000005D14: 0A8080FA FF01502A
	v_mul_f32_dpp v65, v42, v65 row_newbcast:1 row_mask:0xf bank_mask:0xf// 000000005D1C: 0A8282FA FF01512A
	v_mul_f32_dpp v66, v42, v66 row_newbcast:2 row_mask:0xf bank_mask:0xf// 000000005D24: 0A8484FA FF01522A
	v_mul_f32_dpp v67, v42, v67 row_newbcast:3 row_mask:0xf bank_mask:0xf// 000000005D2C: 0A8686FA FF01532A
	v_mul_f32_e32 v68, v14, v68                                // 000000005D34: 0A88890E
	v_mul_f32_e32 v69, v14, v69                                // 000000005D38: 0A8A8B0E
	v_mul_f32_e32 v70, v14, v70                                // 000000005D3C: 0A8C8D0E
	v_mul_f32_e32 v71, v14, v71                                // 000000005D40: 0A8E8F0E
	v_mul_f32_dpp v68, v42, v68 row_newbcast:0 row_mask:0xf bank_mask:0xf// 000000005D44: 0A8888FA FF01502A
	v_mul_f32_dpp v69, v42, v69 row_newbcast:1 row_mask:0xf bank_mask:0xf// 000000005D4C: 0A8A8AFA FF01512A
	v_mul_f32_dpp v70, v42, v70 row_newbcast:2 row_mask:0xf bank_mask:0xf// 000000005D54: 0A8C8CFA FF01522A
	v_mul_f32_dpp v71, v42, v71 row_newbcast:3 row_mask:0xf bank_mask:0xf// 000000005D5C: 0A8E8EFA FF01532A
	v_mul_f32_e32 v72, v13, v72                                // 000000005D64: 0A90910D
	v_mul_f32_e32 v73, v13, v73                                // 000000005D68: 0A92930D
	v_mul_f32_e32 v74, v13, v74                                // 000000005D6C: 0A94950D
	v_mul_f32_e32 v75, v13, v75                                // 000000005D70: 0A96970D
	v_mul_f32_dpp v72, v42, v72 row_newbcast:4 row_mask:0xf bank_mask:0xf// 000000005D74: 0A9090FA FF01542A
	v_mul_f32_dpp v73, v42, v73 row_newbcast:5 row_mask:0xf bank_mask:0xf// 000000005D7C: 0A9292FA FF01552A
	v_mul_f32_dpp v74, v42, v74 row_newbcast:6 row_mask:0xf bank_mask:0xf// 000000005D84: 0A9494FA FF01562A
	v_mul_f32_dpp v75, v42, v75 row_newbcast:7 row_mask:0xf bank_mask:0xf// 000000005D8C: 0A9696FA FF01572A
	v_mul_f32_e32 v76, v14, v76                                // 000000005D94: 0A98990E
	v_mul_f32_e32 v77, v14, v77                                // 000000005D98: 0A9A9B0E
	v_mul_f32_e32 v78, v14, v78                                // 000000005D9C: 0A9C9D0E
	v_mul_f32_e32 v79, v14, v79                                // 000000005DA0: 0A9E9F0E
	v_mul_f32_dpp v76, v42, v76 row_newbcast:4 row_mask:0xf bank_mask:0xf// 000000005DA4: 0A9898FA FF01542A
	v_mul_f32_dpp v77, v42, v77 row_newbcast:5 row_mask:0xf bank_mask:0xf// 000000005DAC: 0A9A9AFA FF01552A
	v_mul_f32_dpp v78, v42, v78 row_newbcast:6 row_mask:0xf bank_mask:0xf// 000000005DB4: 0A9C9CFA FF01562A
	v_mul_f32_dpp v79, v42, v79 row_newbcast:7 row_mask:0xf bank_mask:0xf// 000000005DBC: 0A9E9EFA FF01572A
	s_waitcnt vmcnt(4)                                         // 000000005DC4: BF8C0F74
	buffer_load_dwordx4 a[0:3], v34, s[12:15], 0 offen         // 000000005DC8: E05C1000 80830022
	v_mul_f32_e32 v44, v128, v128                              // 000000005DD0: 0A590180
	v_mul_f32_e32 v45, v129, v129                              // 000000005DD4: 0A5B0381
	v_mul_f32_e32 v46, v130, v130                              // 000000005DD8: 0A5D0582
	v_mul_f32_e32 v47, v131, v131                              // 000000005DDC: 0A5F0783
	v_fma_f32 v44, v44, s77, v1                                // 000000005DE0: D1CB002C 04049B2C
	v_fma_f32 v45, v45, s77, v1                                // 000000005DE8: D1CB002D 04049B2D
	v_fma_f32 v46, v46, s77, v1                                // 000000005DF0: D1CB002E 04049B2E
	v_fma_f32 v47, v47, s77, v1                                // 000000005DF8: D1CB002F 04049B2F
	v_mul_f32_e32 v44, v44, v128                               // 000000005E00: 0A59012C
	v_mul_f32_e32 v45, v45, v129                               // 000000005E04: 0A5B032D
	v_mul_f32_e32 v46, v46, v130                               // 000000005E08: 0A5D052E
	v_mul_f32_e32 v47, v47, v131                               // 000000005E0C: 0A5F072F
	v_mul_f32_e64 v44, v44, s6                                 // 000000005E10: D105002C 00000D2C
	v_mul_f32_e64 v45, v45, s6                                 // 000000005E18: D105002D 00000D2D
	v_mul_f32_e64 v46, v46, s6                                 // 000000005E20: D105002E 00000D2E
	v_mul_f32_e64 v47, v47, s6                                 // 000000005E28: D105002F 00000D2F
	v_exp_f32_e32 v44, v44                                     // 000000005E30: 7E58412C
	v_exp_f32_e32 v45, v45                                     // 000000005E34: 7E5A412D
	v_exp_f32_e32 v46, v46                                     // 000000005E38: 7E5C412E
	v_exp_f32_e32 v47, v47                                     // 000000005E3C: 7E5E412F
	buffer_load_dwordx4 a[4:7], v35, s[12:15], 0 offen         // 000000005E40: E05C1000 80830423
	v_add_f32_e64 v44, v44, 1.0                                // 000000005E48: D101002C 0001E52C
	v_add_f32_e64 v45, v45, 1.0                                // 000000005E50: D101002D 0001E52D
	v_add_f32_e64 v46, v46, 1.0                                // 000000005E58: D101002E 0001E52E
	v_add_f32_e64 v47, v47, 1.0                                // 000000005E60: D101002F 0001E52F
	v_rcp_f32_e32 v44, v44                                     // 000000005E68: 7E58452C
	v_rcp_f32_e32 v45, v45                                     // 000000005E6C: 7E5A452D
	v_rcp_f32_e32 v46, v46                                     // 000000005E70: 7E5C452E
	v_rcp_f32_e32 v47, v47                                     // 000000005E74: 7E5E452F
	v_mul_f32_e32 v128, v128, v44                              // 000000005E78: 0B005980
	v_mul_f32_e32 v129, v129, v45                              // 000000005E7C: 0B025B81
	v_mul_f32_e32 v130, v130, v46                              // 000000005E80: 0B045D82
	v_mul_f32_e32 v131, v131, v47                              // 000000005E84: 0B065F83
	v_mul_f32_e32 v128, v128, v64                              // 000000005E88: 0B008180
	v_mul_f32_e32 v129, v129, v65                              // 000000005E8C: 0B028381
	v_mul_f32_e32 v130, v130, v66                              // 000000005E90: 0B048582
	v_mul_f32_e32 v131, v131, v67                              // 000000005E94: 0B068783
	buffer_load_dwordx4 a[8:11], v36, s[12:15], 0 offen        // 000000005E98: E05C1000 80830824
	v_mul_f32_e32 v44, v132, v132                              // 000000005EA0: 0A590984
	v_mul_f32_e32 v45, v133, v133                              // 000000005EA4: 0A5B0B85
	v_mul_f32_e32 v46, v134, v134                              // 000000005EA8: 0A5D0D86
	v_mul_f32_e32 v47, v135, v135                              // 000000005EAC: 0A5F0F87
	v_fma_f32 v44, v44, s77, v1                                // 000000005EB0: D1CB002C 04049B2C
	v_fma_f32 v45, v45, s77, v1                                // 000000005EB8: D1CB002D 04049B2D
	v_fma_f32 v46, v46, s77, v1                                // 000000005EC0: D1CB002E 04049B2E
	v_fma_f32 v47, v47, s77, v1                                // 000000005EC8: D1CB002F 04049B2F
	v_mul_f32_e32 v44, v44, v132                               // 000000005ED0: 0A59092C
	v_mul_f32_e32 v45, v45, v133                               // 000000005ED4: 0A5B0B2D
	v_mul_f32_e32 v46, v46, v134                               // 000000005ED8: 0A5D0D2E
	v_mul_f32_e32 v47, v47, v135                               // 000000005EDC: 0A5F0F2F
	v_mul_f32_e64 v44, v44, s6                                 // 000000005EE0: D105002C 00000D2C
	v_mul_f32_e64 v45, v45, s6                                 // 000000005EE8: D105002D 00000D2D
	v_mul_f32_e64 v46, v46, s6                                 // 000000005EF0: D105002E 00000D2E
	v_mul_f32_e64 v47, v47, s6                                 // 000000005EF8: D105002F 00000D2F
	v_exp_f32_e32 v44, v44                                     // 000000005F00: 7E58412C
	v_exp_f32_e32 v45, v45                                     // 000000005F04: 7E5A412D
	v_exp_f32_e32 v46, v46                                     // 000000005F08: 7E5C412E
	v_exp_f32_e32 v47, v47                                     // 000000005F0C: 7E5E412F
	buffer_load_dwordx4 a[12:15], v37, s[12:15], 0 offen       // 000000005F10: E05C1000 80830C25
	s_add_u32 s12, s78, s12                                    // 000000005F18: 800C0C4E
	s_addc_u32 s13, 0, s13                                     // 000000005F1C: 820D0D80
	v_add_f32_e64 v44, v44, 1.0                                // 000000005F20: D101002C 0001E52C
	v_add_f32_e64 v45, v45, 1.0                                // 000000005F28: D101002D 0001E52D
	v_add_f32_e64 v46, v46, 1.0                                // 000000005F30: D101002E 0001E52E
	v_add_f32_e64 v47, v47, 1.0                                // 000000005F38: D101002F 0001E52F
	v_rcp_f32_e32 v44, v44                                     // 000000005F40: 7E58452C
	v_rcp_f32_e32 v45, v45                                     // 000000005F44: 7E5A452D
	v_rcp_f32_e32 v46, v46                                     // 000000005F48: 7E5C452E
	v_rcp_f32_e32 v47, v47                                     // 000000005F4C: 7E5E452F
	v_mul_f32_e32 v132, v132, v44                              // 000000005F50: 0B085984
	v_mul_f32_e32 v133, v133, v45                              // 000000005F54: 0B0A5B85
	v_mul_f32_e32 v134, v134, v46                              // 000000005F58: 0B0C5D86
	v_mul_f32_e32 v135, v135, v47                              // 000000005F5C: 0B0E5F87
	v_mul_f32_e32 v132, v132, v68                              // 000000005F60: 0B088984
	v_mul_f32_e32 v133, v133, v69                              // 000000005F64: 0B0A8B85
	v_mul_f32_e32 v134, v134, v70                              // 000000005F68: 0B0C8D86
	v_mul_f32_e32 v135, v135, v71                              // 000000005F6C: 0B0E8F87
	s_waitcnt vmcnt(4)                                         // 000000005F70: BF8C0F74
	buffer_load_dwordx4 a[16:19], v34, s[12:15], 0 offen       // 000000005F74: E05C1000 80831022
	v_mul_f32_e32 v44, v136, v136                              // 000000005F7C: 0A591188
	v_mul_f32_e32 v45, v137, v137                              // 000000005F80: 0A5B1389
	v_mul_f32_e32 v46, v138, v138                              // 000000005F84: 0A5D158A
	v_mul_f32_e32 v47, v139, v139                              // 000000005F88: 0A5F178B
	v_fma_f32 v44, v44, s77, v1                                // 000000005F8C: D1CB002C 04049B2C
	v_fma_f32 v45, v45, s77, v1                                // 000000005F94: D1CB002D 04049B2D
	v_fma_f32 v46, v46, s77, v1                                // 000000005F9C: D1CB002E 04049B2E
	v_fma_f32 v47, v47, s77, v1                                // 000000005FA4: D1CB002F 04049B2F
	v_mul_f32_e32 v44, v44, v136                               // 000000005FAC: 0A59112C
	v_mul_f32_e32 v45, v45, v137                               // 000000005FB0: 0A5B132D
	v_mul_f32_e32 v46, v46, v138                               // 000000005FB4: 0A5D152E
	v_mul_f32_e32 v47, v47, v139                               // 000000005FB8: 0A5F172F
	v_mul_f32_e64 v44, v44, s6                                 // 000000005FBC: D105002C 00000D2C
	v_mul_f32_e64 v45, v45, s6                                 // 000000005FC4: D105002D 00000D2D
	v_mul_f32_e64 v46, v46, s6                                 // 000000005FCC: D105002E 00000D2E
	v_mul_f32_e64 v47, v47, s6                                 // 000000005FD4: D105002F 00000D2F
	v_exp_f32_e32 v44, v44                                     // 000000005FDC: 7E58412C
	v_exp_f32_e32 v45, v45                                     // 000000005FE0: 7E5A412D
	v_exp_f32_e32 v46, v46                                     // 000000005FE4: 7E5C412E
	v_exp_f32_e32 v47, v47                                     // 000000005FE8: 7E5E412F
	buffer_load_dwordx4 a[20:23], v35, s[12:15], 0 offen       // 000000005FEC: E05C1000 80831423
	v_add_f32_e64 v44, v44, 1.0                                // 000000005FF4: D101002C 0001E52C
	v_add_f32_e64 v45, v45, 1.0                                // 000000005FFC: D101002D 0001E52D
	v_add_f32_e64 v46, v46, 1.0                                // 000000006004: D101002E 0001E52E
	v_add_f32_e64 v47, v47, 1.0                                // 00000000600C: D101002F 0001E52F
	v_rcp_f32_e32 v44, v44                                     // 000000006014: 7E58452C
	v_rcp_f32_e32 v45, v45                                     // 000000006018: 7E5A452D
	v_rcp_f32_e32 v46, v46                                     // 00000000601C: 7E5C452E
	v_rcp_f32_e32 v47, v47                                     // 000000006020: 7E5E452F
	v_mul_f32_e32 v136, v136, v44                              // 000000006024: 0B105988
	v_mul_f32_e32 v137, v137, v45                              // 000000006028: 0B125B89
	v_mul_f32_e32 v138, v138, v46                              // 00000000602C: 0B145D8A
	v_mul_f32_e32 v139, v139, v47                              // 000000006030: 0B165F8B
	v_mul_f32_e32 v136, v136, v72                              // 000000006034: 0B109188
	v_mul_f32_e32 v137, v137, v73                              // 000000006038: 0B129389
	v_mul_f32_e32 v138, v138, v74                              // 00000000603C: 0B14958A
	v_mul_f32_e32 v139, v139, v75                              // 000000006040: 0B16978B
	buffer_load_dwordx4 a[24:27], v36, s[12:15], 0 offen       // 000000006044: E05C1000 80831824
	v_mul_f32_e32 v44, v140, v140                              // 00000000604C: 0A59198C
	v_mul_f32_e32 v45, v141, v141                              // 000000006050: 0A5B1B8D
	v_mul_f32_e32 v46, v142, v142                              // 000000006054: 0A5D1D8E
	v_mul_f32_e32 v47, v143, v143                              // 000000006058: 0A5F1F8F
	v_fma_f32 v44, v44, s77, v1                                // 00000000605C: D1CB002C 04049B2C
	v_fma_f32 v45, v45, s77, v1                                // 000000006064: D1CB002D 04049B2D
	v_fma_f32 v46, v46, s77, v1                                // 00000000606C: D1CB002E 04049B2E
	v_fma_f32 v47, v47, s77, v1                                // 000000006074: D1CB002F 04049B2F
	v_mul_f32_e32 v44, v44, v140                               // 00000000607C: 0A59192C
	v_mul_f32_e32 v45, v45, v141                               // 000000006080: 0A5B1B2D
	v_mul_f32_e32 v46, v46, v142                               // 000000006084: 0A5D1D2E
	v_mul_f32_e32 v47, v47, v143                               // 000000006088: 0A5F1F2F
	v_mul_f32_e64 v44, v44, s6                                 // 00000000608C: D105002C 00000D2C
	v_mul_f32_e64 v45, v45, s6                                 // 000000006094: D105002D 00000D2D
	v_mul_f32_e64 v46, v46, s6                                 // 00000000609C: D105002E 00000D2E
	v_mul_f32_e64 v47, v47, s6                                 // 0000000060A4: D105002F 00000D2F
	v_exp_f32_e32 v44, v44                                     // 0000000060AC: 7E58412C
	v_exp_f32_e32 v45, v45                                     // 0000000060B0: 7E5A412D
	v_exp_f32_e32 v46, v46                                     // 0000000060B4: 7E5C412E
	v_exp_f32_e32 v47, v47                                     // 0000000060B8: 7E5E412F
	buffer_load_dwordx4 a[28:31], v37, s[12:15], 0 offen       // 0000000060BC: E05C1000 80831C25
	v_add_f32_e64 v44, v44, 1.0                                // 0000000060C4: D101002C 0001E52C
	v_add_f32_e64 v45, v45, 1.0                                // 0000000060CC: D101002D 0001E52D
	v_add_f32_e64 v46, v46, 1.0                                // 0000000060D4: D101002E 0001E52E
	v_add_f32_e64 v47, v47, 1.0                                // 0000000060DC: D101002F 0001E52F
	v_rcp_f32_e32 v44, v44                                     // 0000000060E4: 7E58452C
	v_rcp_f32_e32 v45, v45                                     // 0000000060E8: 7E5A452D
	v_rcp_f32_e32 v46, v46                                     // 0000000060EC: 7E5C452E
	v_rcp_f32_e32 v47, v47                                     // 0000000060F0: 7E5E452F
	v_mul_f32_e32 v140, v140, v44                              // 0000000060F4: 0B18598C
	v_mul_f32_e32 v141, v141, v45                              // 0000000060F8: 0B1A5B8D
	v_mul_f32_e32 v142, v142, v46                              // 0000000060FC: 0B1C5D8E
	v_mul_f32_e32 v143, v143, v47                              // 000000006100: 0B1E5F8F
	v_mul_f32_e32 v140, v140, v76                              // 000000006104: 0B18998C
	v_mul_f32_e32 v141, v141, v77                              // 000000006108: 0B1A9B8D
	v_mul_f32_e32 v142, v142, v78                              // 00000000610C: 0B1C9D8E
	v_mul_f32_e32 v143, v143, v79                              // 000000006110: 0B1E9F8F
	v_lshlrev_b32_e32 v44, 2, v0                               // 000000006114: 24580082
	s_mul_i32 s60, s82, s71                                    // 000000006118: 923C4752
	v_add_u32_e64 v80, v44, s60                                // 00000000611C: D1340050 0000792C
	v_mov_b32_e32 v81, 0                                       // 000000006124: 7EA20280
	s_mul_i32 s60, s83, s71                                    // 000000006128: 923C4753
	v_add_u32_e64 v82, v44, s60                                // 00000000612C: D1340052 0000792C
	v_mov_b32_e32 v83, 0                                       // 000000006134: 7EA60280
	s_mul_i32 s60, s84, s71                                    // 000000006138: 923C4754
	v_add_u32_e64 v84, v44, s60                                // 00000000613C: D1340054 0000792C
	v_mov_b32_e32 v85, 0                                       // 000000006144: 7EAA0280
	s_mul_i32 s60, s85, s71                                    // 000000006148: 923C4755
	v_add_u32_e64 v86, v44, s60                                // 00000000614C: D1340056 0000792C
	v_mov_b32_e32 v87, 0                                       // 000000006154: 7EAE0280
	s_mul_i32 s60, s86, s71                                    // 000000006158: 923C4756
	v_add_u32_e64 v88, v44, s60                                // 00000000615C: D1340058 0000792C
	v_mov_b32_e32 v89, 0                                       // 000000006164: 7EB20280
	s_mul_i32 s60, s87, s71                                    // 000000006168: 923C4757
	v_add_u32_e64 v90, v44, s60                                // 00000000616C: D134005A 0000792C
	v_mov_b32_e32 v91, 0                                       // 000000006174: 7EB60280
	s_mul_i32 s60, s88, s71                                    // 000000006178: 923C4758
	v_add_u32_e64 v92, v44, s60                                // 00000000617C: D134005C 0000792C
	v_mov_b32_e32 v93, 0                                       // 000000006184: 7EBA0280
	s_mul_i32 s60, s89, s71                                    // 000000006188: 923C4759
	v_add_u32_e64 v94, v44, s60                                // 00000000618C: D134005E 0000792C
	v_mov_b32_e32 v95, 0                                       // 000000006194: 7EBE0280
	buffer_load_dword v11, v5, s[16:19], 0 offen               // 000000006198: E0501000 80040B05
	v_mov_b32_e32 v20, 0x358637bd                              // 0000000061A0: 7E2802FF 358637BD
	v_mov_b32_e32 v21, 0x358637bd                              // 0000000061A8: 7E2A02FF 358637BD
	v_max3_f32 v20, |v128|, |v129|, v20                        // 0000000061B0: D1D30314 04530380
	v_max3_f32 v20, |v130|, |v131|, v20                        // 0000000061B8: D1D30314 04530782
	v_max3_f32 v21, |v132|, |v133|, v21                        // 0000000061C0: D1D30315 04570B84
	v_max3_f32 v21, |v134|, |v135|, v21                        // 0000000061C8: D1D30315 04570F86
	v_max3_f32 v20, |v136|, |v137|, v20                        // 0000000061D0: D1D30314 04531388
	v_max3_f32 v20, |v138|, |v139|, v20                        // 0000000061D8: D1D30314 0453178A
	v_max3_f32 v21, |v140|, |v141|, v21                        // 0000000061E0: D1D30315 04571B8C
	v_max3_f32 v21, |v142|, |v143|, v21                        // 0000000061E8: D1D30315 04571F8E
	v_lshlrev_b32_e32 v44, 3, v0                               // 0000000061F0: 24580083
	s_mul_i32 s60, 0x200, s7                                   // 0000000061F4: 923C07FF 00000200
	v_add_u32_e32 v44, s60, v44                                // 0000000061FC: 6858583C
	ds_write_b64 v44, v[20:21] offset:16640                    // 000000006200: D89A4100 0000142C
	s_waitcnt lgkmcnt(0)                                       // 000000006208: BF8CC07F
	s_barrier                                                  // 00000000620C: BF8A0000
	v_and_b32_e32 v44, 15, v0                                  // 000000006210: 2658008F
	v_lshlrev_b32_e32 v44, 3, v44                              // 000000006214: 24585883
	ds_read_b64 v[96:97], v44 offset:16640                     // 000000006218: D8EC4100 6000002C
	ds_read_b64 v[98:99], v44 offset:16768                     // 000000006220: D8EC4180 6200002C
	ds_read_b64 v[100:101], v44 offset:16896                   // 000000006228: D8EC4200 6400002C
	ds_read_b64 v[102:103], v44 offset:17024                   // 000000006230: D8EC4280 6600002C
	ds_read_b64 v[104:105], v44 offset:17152                   // 000000006238: D8EC4300 6800002C
	ds_read_b64 v[106:107], v44 offset:17280                   // 000000006240: D8EC4380 6A00002C
	ds_read_b64 v[108:109], v44 offset:17408                   // 000000006248: D8EC4400 6C00002C
	ds_read_b64 v[110:111], v44 offset:17536                   // 000000006250: D8EC4480 6E00002C
	ds_read_b64 v[112:113], v44 offset:17664                   // 000000006258: D8EC4500 7000002C
	ds_read_b64 v[114:115], v44 offset:17792                   // 000000006260: D8EC4580 7200002C
	ds_read_b64 v[116:117], v44 offset:17920                   // 000000006268: D8EC4600 7400002C
	ds_read_b64 v[118:119], v44 offset:18048                   // 000000006270: D8EC4680 7600002C
	ds_read_b64 v[120:121], v44 offset:18176                   // 000000006278: D8EC4700 7800002C
	ds_read_b64 v[122:123], v44 offset:18304                   // 000000006280: D8EC4780 7A00002C
	ds_read_b64 v[124:125], v44 offset:18432                   // 000000006288: D8EC4800 7C00002C
	ds_read_b64 v[126:127], v44 offset:18560                   // 000000006290: D8EC4880 7E00002C
	s_waitcnt lgkmcnt(0)                                       // 000000006298: BF8CC07F
	v_max3_f32 v20, |v96|, |v98|, v20                          // 00000000629C: D1D30314 0452C560
	v_max3_f32 v21, |v97|, |v99|, v21                          // 0000000062A4: D1D30315 0456C761
	v_max3_f32 v20, |v100|, |v102|, v20                        // 0000000062AC: D1D30314 0452CD64
	v_max3_f32 v21, |v101|, |v103|, v21                        // 0000000062B4: D1D30315 0456CF65
	v_max3_f32 v20, |v104|, |v106|, v20                        // 0000000062BC: D1D30314 0452D568
	v_max3_f32 v21, |v105|, |v107|, v21                        // 0000000062C4: D1D30315 0456D769
	v_max3_f32 v20, |v108|, |v110|, v20                        // 0000000062CC: D1D30314 0452DD6C
	v_max3_f32 v21, |v109|, |v111|, v21                        // 0000000062D4: D1D30315 0456DF6D
	v_max3_f32 v20, |v112|, |v114|, v20                        // 0000000062DC: D1D30314 0452E570
	v_max3_f32 v21, |v113|, |v115|, v21                        // 0000000062E4: D1D30315 0456E771
	v_max3_f32 v20, |v116|, |v118|, v20                        // 0000000062EC: D1D30314 0452ED74
	v_max3_f32 v21, |v117|, |v119|, v21                        // 0000000062F4: D1D30315 0456EF75
	v_max3_f32 v20, |v120|, |v122|, v20                        // 0000000062FC: D1D30314 0452F578
	v_max3_f32 v21, |v121|, |v123|, v21                        // 000000006304: D1D30315 0456F779
	v_max3_f32 v20, |v124|, |v126|, v20                        // 00000000630C: D1D30314 0452FD7C
	v_max3_f32 v21, |v125|, |v127|, v21                        // 000000006314: D1D30315 0456FF7D
	v_rcp_f32_e32 v20, v20                                     // 00000000631C: 7E284514
	v_rcp_f32_e32 v21, v21                                     // 000000006320: 7E2A4515
	v_mov_b32_e32 v44, 0x43700000                              // 000000006324: 7E5802FF 43700000
	v_mul_f32_e32 v20, v44, v20                                // 00000000632C: 0A28292C
	v_mul_f32_e32 v21, v44, v21                                // 000000006330: 0A2A2B2C
	v_mul_f32_e32 v128, v20, v128                              // 000000006334: 0B010114
	v_mul_f32_e32 v129, v20, v129                              // 000000006338: 0B030314
	v_mul_f32_e32 v130, v20, v130                              // 00000000633C: 0B050514
	v_mul_f32_e32 v131, v20, v131                              // 000000006340: 0B070714
	v_cvt_pk_fp8_f32 v128, v128, v129                          // 000000006344: D2A20080 00030380
	v_cvt_pk_fp8_f32 v128, v130, v131 op_sel:[0,0,1]           // 00000000634C: D2A24080 00030782
	v_mul_f32_e32 v132, v21, v132                              // 000000006354: 0B090915
	v_mul_f32_e32 v133, v21, v133                              // 000000006358: 0B0B0B15
	v_mul_f32_e32 v134, v21, v134                              // 00000000635C: 0B0D0D15
	v_mul_f32_e32 v135, v21, v135                              // 000000006360: 0B0F0F15
	v_cvt_pk_fp8_f32 v129, v132, v133                          // 000000006364: D2A20081 00030B84
	v_cvt_pk_fp8_f32 v129, v134, v135 op_sel:[0,0,1]           // 00000000636C: D2A24081 00030F86
	v_mul_f32_e32 v136, v20, v136                              // 000000006374: 0B111114
	v_mul_f32_e32 v137, v20, v137                              // 000000006378: 0B131314
	v_mul_f32_e32 v138, v20, v138                              // 00000000637C: 0B151514
	v_mul_f32_e32 v139, v20, v139                              // 000000006380: 0B171714
	v_cvt_pk_fp8_f32 v130, v136, v137                          // 000000006384: D2A20082 00031388
	v_cvt_pk_fp8_f32 v130, v138, v139 op_sel:[0,0,1]           // 00000000638C: D2A24082 0003178A
	v_mul_f32_e32 v140, v21, v140                              // 000000006394: 0B191915
	v_mul_f32_e32 v141, v21, v141                              // 000000006398: 0B1B1B15
	v_mul_f32_e32 v142, v21, v142                              // 00000000639C: 0B1D1D15
	v_mul_f32_e32 v143, v21, v143                              // 0000000063A0: 0B1F1F15
	v_cvt_pk_fp8_f32 v131, v140, v141                          // 0000000063A4: D2A20083 00031B8C
	v_cvt_pk_fp8_f32 v131, v142, v143 op_sel:[0,0,1]           // 0000000063AC: D2A24083 00031F8E
	v_rcp_f32_e32 v22, v20                                     // 0000000063B4: 7E2C4514
	v_rcp_f32_e32 v23, v21                                     // 0000000063B8: 7E2E4515
	v_lshrrev_b32_e32 v44, 5, v0                               // 0000000063BC: 20580085
	v_lshlrev_b32_e32 v45, 5, v44                              // 0000000063C0: 245A5885
	v_and_b32_e32 v44, 31, v0                                  // 0000000063C4: 2658009F
	v_lshrrev_b32_e32 v46, 4, v44                              // 0000000063C8: 205C5884
	v_add_u32_e32 v45, v46, v45                                // 0000000063CC: 685A5B2E
	v_and_b32_e32 v44, 15, v0                                  // 0000000063D0: 2658008F
	v_lshlrev_b32_e32 v44, 1, v44                              // 0000000063D4: 24585881
	v_add_u32_e32 v45, v44, v45                                // 0000000063D8: 685A5B2C
	v_lshlrev_b32_e32 v44, 2, v45                              // 0000000063DC: 24585A82
	s_mul_i32 s60, 0x100, s7                                   // 0000000063E0: 923C07FF 00000100
	v_add_u32_e64 v44, v44, s60                                // 0000000063E8: D134002C 0000792C
	ds_write_b32 v44, v128 offset:18688                        // 0000000063F0: D81A4900 0000802C
	ds_write_b32 v44, v129 offset:20736                        // 0000000063F8: D81A5100 0000812C
	ds_write_b32 v44, v130 offset:19712                        // 000000006400: D81A4D00 0000822C
	ds_write_b32 v44, v131 offset:21760                        // 000000006408: D81A5500 0000832C
	s_waitcnt lgkmcnt(0)                                       // 000000006410: BF8CC07F
	s_barrier                                                  // 000000006414: BF8A0000
	v_lshrrev_b32_e32 v44, 4, v0                               // 000000006418: 20580084
	v_lshlrev_b32_e32 v45, 6, v44                              // 00000000641C: 245A5886
	v_and_b32_e32 v44, 15, v0                                  // 000000006420: 2658008F
	v_lshlrev_b32_e32 v44, 1, v44                              // 000000006424: 24585881
	v_add_u32_e32 v45, v44, v45                                // 000000006428: 685A5B2C
	v_lshlrev_b32_e32 v44, 2, v45                              // 00000000642C: 24585A82
	ds_read_b64 v[128:129], v44 offset:18688                   // 000000006430: D8EC4900 8000002C
	ds_read_b64 v[130:131], v44 offset:18816                   // 000000006438: D8EC4980 8200002C
	ds_read_b64 v[132:133], v44 offset:19712                   // 000000006440: D8EC4D00 8400002C
	ds_read_b64 v[134:135], v44 offset:19840                   // 000000006448: D8EC4D80 8600002C
	ds_read_b64 v[136:137], v44 offset:20736                   // 000000006450: D8EC5100 8800002C
	ds_read_b64 v[138:139], v44 offset:20864                   // 000000006458: D8EC5180 8A00002C
	ds_read_b64 v[140:141], v44 offset:21760                   // 000000006460: D8EC5500 8C00002C
	ds_read_b64 v[142:143], v44 offset:21888                   // 000000006468: D8EC5580 8E00002C
	s_add_u32 s12, s56, s12                                    // 000000006470: 800C0C38
	s_addc_u32 s13, 0, s13                                     // 000000006474: 820D0D80
	s_add_u32 s16, s79, s16                                    // 000000006478: 8010104F
	s_addc_u32 s17, 0, s17                                     // 00000000647C: 82111180
	s_mov_b32 s80, 0                                           // 000000006480: BED00080
	s_waitcnt vmcnt(0) expcnt(0) lgkmcnt(0)                    // 000000006484: BF8C0000

0000000000006488 <label_0E62>:
	s_waitcnt vmcnt(21)                                        // 000000006488: BF8C4F75
	s_barrier                                                  // 00000000648C: BF8A0000
	v_mfma_f32_16x16x32_fp8_fp8 v[144:147], a[0:1], v[128:129], 0// 000000006490: D3F30090 0A030100
	buffer_load_dwordx4 a[32:35], v34, s[12:15], 0 offen       // 000000006498: E05C1000 80832022
	v_mfma_f32_16x16x32_fp8_fp8 v[144:147], a[2:3], v[130:131], v[144:147]// 0000000064A0: D3F30090 0E430502
	v_mfma_f32_16x16x32_fp8_fp8 v[148:151], a[0:1], v[136:137], 0// 0000000064A8: D3F30094 0A031100
	v_mfma_f32_16x16x32_fp8_fp8 v[148:151], a[2:3], v[138:139], v[148:151]// 0000000064B0: D3F30094 0E531502
	v_mfma_f32_16x16x32_fp8_fp8 v[152:155], a[4:5], v[128:129], 0// 0000000064B8: D3F30098 0A030104
	buffer_load_dwordx4 a[36:39], v35, s[12:15], 0 offen       // 0000000064C0: E05C1000 80832423
	v_mfma_f32_16x16x32_fp8_fp8 v[152:155], a[6:7], v[130:131], v[152:155]// 0000000064C8: D3F30098 0E630506
	v_mfma_f32_16x16x32_fp8_fp8 v[156:159], a[4:5], v[136:137], 0// 0000000064D0: D3F3009C 0A031104
	v_mfma_f32_16x16x32_fp8_fp8 v[156:159], a[6:7], v[138:139], v[156:159]// 0000000064D8: D3F3009C 0E731506
	v_mfma_f32_16x16x32_fp8_fp8 v[160:163], a[8:9], v[128:129], 0// 0000000064E0: D3F300A0 0A030108
	buffer_load_dwordx4 a[40:43], v36, s[12:15], 0 offen       // 0000000064E8: E05C1000 80832824
	v_mfma_f32_16x16x32_fp8_fp8 v[160:163], a[10:11], v[130:131], v[160:163]// 0000000064F0: D3F300A0 0E83050A
	v_mfma_f32_16x16x32_fp8_fp8 v[164:167], a[8:9], v[136:137], 0// 0000000064F8: D3F300A4 0A031108
	v_mfma_f32_16x16x32_fp8_fp8 v[164:167], a[10:11], v[138:139], v[164:167]// 000000006500: D3F300A4 0E93150A
	v_mfma_f32_16x16x32_fp8_fp8 v[168:171], a[12:13], v[128:129], 0// 000000006508: D3F300A8 0A03010C
	buffer_load_dwordx4 a[44:47], v37, s[12:15], 0 offen       // 000000006510: E05C1000 80832C25
	s_add_u32 s12, s78, s12                                    // 000000006518: 800C0C4E
	s_addc_u32 s13, 0, s13                                     // 00000000651C: 820D0D80
	v_mfma_f32_16x16x32_fp8_fp8 v[168:171], a[14:15], v[130:131], v[168:171]// 000000006520: D3F300A8 0EA3050E
	v_mfma_f32_16x16x32_fp8_fp8 v[172:175], a[12:13], v[136:137], 0// 000000006528: D3F300AC 0A03110C
	v_mfma_f32_16x16x32_fp8_fp8 v[172:175], a[14:15], v[138:139], v[172:175]// 000000006530: D3F300AC 0EB3150E
	s_waitcnt vmcnt(20)                                        // 000000006538: BF8C4F74
	v_mfma_f32_16x16x32_fp8_fp8 v[144:147], a[16:17], v[132:133], v[144:147]// 00000000653C: D3F30090 0E430910
	buffer_load_dwordx4 a[48:51], v34, s[12:15], 0 offen       // 000000006544: E05C1000 80833022
	v_mfma_f32_16x16x32_fp8_fp8 v[144:147], a[18:19], v[134:135], v[144:147]// 00000000654C: D3F30090 0E430D12
	v_mfma_f32_16x16x32_fp8_fp8 v[148:151], a[16:17], v[140:141], v[148:151]// 000000006554: D3F30094 0E531910
	buffer_load_dword v12, v5, s[16:19], 0 offen               // 00000000655C: E0501000 80040C05
	v_mfma_f32_16x16x32_fp8_fp8 v[148:151], a[18:19], v[142:143], v[148:151]// 000000006564: D3F30094 0E531D12
	v_mfma_f32_16x16x32_fp8_fp8 v[152:155], a[20:21], v[132:133], v[152:155]// 00000000656C: D3F30098 0E630914
	buffer_load_dwordx4 a[52:55], v35, s[12:15], 0 offen       // 000000006574: E05C1000 80833423
	v_mfma_f32_16x16x32_fp8_fp8 v[152:155], a[22:23], v[134:135], v[152:155]// 00000000657C: D3F30098 0E630D16
	v_mfma_f32_16x16x32_fp8_fp8 v[156:159], a[20:21], v[140:141], v[156:159]// 000000006584: D3F3009C 0E731914
	v_mfma_f32_16x16x32_fp8_fp8 v[156:159], a[22:23], v[142:143], v[156:159]// 00000000658C: D3F3009C 0E731D16
	v_mfma_f32_16x16x32_fp8_fp8 v[160:163], a[24:25], v[132:133], v[160:163]// 000000006594: D3F300A0 0E830918
	buffer_load_dwordx4 a[56:59], v36, s[12:15], 0 offen       // 00000000659C: E05C1000 80833824
	v_mfma_f32_16x16x32_fp8_fp8 v[160:163], a[26:27], v[134:135], v[160:163]// 0000000065A4: D3F300A0 0E830D1A
	v_mfma_f32_16x16x32_fp8_fp8 v[164:167], a[24:25], v[140:141], v[164:167]// 0000000065AC: D3F300A4 0E931918
	v_mfma_f32_16x16x32_fp8_fp8 v[164:167], a[26:27], v[142:143], v[164:167]// 0000000065B4: D3F300A4 0E931D1A
	v_mfma_f32_16x16x32_fp8_fp8 v[168:171], a[28:29], v[132:133], v[168:171]// 0000000065BC: D3F300A8 0EA3091C
	buffer_load_dwordx4 a[60:63], v37, s[12:15], 0 offen       // 0000000065C4: E05C1000 80833C25
	v_mfma_f32_16x16x32_fp8_fp8 v[168:171], a[30:31], v[134:135], v[168:171]// 0000000065CC: D3F300A8 0EA30D1E
	v_mfma_f32_16x16x32_fp8_fp8 v[172:175], a[28:29], v[140:141], v[172:175]// 0000000065D4: D3F300AC 0EB3191C
	v_mfma_f32_16x16x32_fp8_fp8 v[172:175], a[30:31], v[142:143], v[172:175]// 0000000065DC: D3F300AC 0EB31D1E
	s_add_u32 s60, 0x200, s80                                  // 0000000065E4: 803C50FF 00000200
	s_cmp_lt_u32 s60, s81                                      // 0000000065EC: BF0A513C
	s_cselect_b32 s56, s56, 0                                  // 0000000065F0: 85388038
	s_cselect_b32 s78, s78, 0                                  // 0000000065F4: 854E804E
	s_cselect_b32 s79, s79, 0                                  // 0000000065F8: 854F804F
	s_add_u32 s12, s56, s12                                    // 0000000065FC: 800C0C38
	s_addc_u32 s13, 0, s13                                     // 000000006600: 820D0D80
	s_add_u32 s16, s79, s16                                    // 000000006604: 8010104F
	s_addc_u32 s17, 0, s17                                     // 000000006608: 82111180
	v_mul_f32_e32 v144, v22, v144                              // 00000000660C: 0B212116
	v_mul_f32_e32 v145, v22, v145                              // 000000006610: 0B232316
	v_mul_f32_e32 v146, v22, v146                              // 000000006614: 0B252516
	v_mul_f32_e32 v147, v22, v147                              // 000000006618: 0B272716
	v_mul_f32_dpp v144, v11, v144 row_newbcast:0 row_mask:0xf bank_mask:0xf// 00000000661C: 0B2120FA FF01500B
	v_mul_f32_dpp v145, v11, v145 row_newbcast:1 row_mask:0xf bank_mask:0xf// 000000006624: 0B2322FA FF01510B
	v_mul_f32_dpp v146, v11, v146 row_newbcast:2 row_mask:0xf bank_mask:0xf// 00000000662C: 0B2524FA FF01520B
	v_mul_f32_dpp v147, v11, v147 row_newbcast:3 row_mask:0xf bank_mask:0xf// 000000006634: 0B2726FA FF01530B
	v_mul_f32_e32 v144, v17, v144                              // 00000000663C: 0B212111
	v_mul_f32_e32 v145, v17, v145                              // 000000006640: 0B232311
	v_mul_f32_e32 v146, v17, v146                              // 000000006644: 0B252511
	v_mul_f32_e32 v147, v17, v147                              // 000000006648: 0B272711
	v_mul_f32_e32 v148, v23, v148                              // 00000000664C: 0B292917
	v_mul_f32_e32 v149, v23, v149                              // 000000006650: 0B2B2B17
	v_mul_f32_e32 v150, v23, v150                              // 000000006654: 0B2D2D17
	v_mul_f32_e32 v151, v23, v151                              // 000000006658: 0B2F2F17
	v_mul_f32_dpp v148, v11, v148 row_newbcast:0 row_mask:0xf bank_mask:0xf// 00000000665C: 0B2928FA FF01500B
	v_mul_f32_dpp v149, v11, v149 row_newbcast:1 row_mask:0xf bank_mask:0xf// 000000006664: 0B2B2AFA FF01510B
	v_mul_f32_dpp v150, v11, v150 row_newbcast:2 row_mask:0xf bank_mask:0xf// 00000000666C: 0B2D2CFA FF01520B
	v_mul_f32_dpp v151, v11, v151 row_newbcast:3 row_mask:0xf bank_mask:0xf// 000000006674: 0B2F2EFA FF01530B
	v_mul_f32_e32 v148, v18, v148                              // 00000000667C: 0B292912
	v_mul_f32_e32 v149, v18, v149                              // 000000006680: 0B2B2B12
	v_mul_f32_e32 v150, v18, v150                              // 000000006684: 0B2D2D12
	v_mul_f32_e32 v151, v18, v151                              // 000000006688: 0B2F2F12
	v_mul_f32_e32 v152, v22, v152                              // 00000000668C: 0B313116
	v_mul_f32_e32 v153, v22, v153                              // 000000006690: 0B333316
	v_mul_f32_e32 v154, v22, v154                              // 000000006694: 0B353516
	v_mul_f32_e32 v155, v22, v155                              // 000000006698: 0B373716
	v_mul_f32_dpp v152, v11, v152 row_newbcast:4 row_mask:0xf bank_mask:0xf// 00000000669C: 0B3130FA FF01540B
	v_mul_f32_dpp v153, v11, v153 row_newbcast:5 row_mask:0xf bank_mask:0xf// 0000000066A4: 0B3332FA FF01550B
	v_mul_f32_dpp v154, v11, v154 row_newbcast:6 row_mask:0xf bank_mask:0xf// 0000000066AC: 0B3534FA FF01560B
	v_mul_f32_dpp v155, v11, v155 row_newbcast:7 row_mask:0xf bank_mask:0xf// 0000000066B4: 0B3736FA FF01570B
	v_mul_f32_e32 v152, v17, v152                              // 0000000066BC: 0B313111
	v_mul_f32_e32 v153, v17, v153                              // 0000000066C0: 0B333311
	v_mul_f32_e32 v154, v17, v154                              // 0000000066C4: 0B353511
	v_mul_f32_e32 v155, v17, v155                              // 0000000066C8: 0B373711
	v_mul_f32_e32 v156, v23, v156                              // 0000000066CC: 0B393917
	v_mul_f32_e32 v157, v23, v157                              // 0000000066D0: 0B3B3B17
	v_mul_f32_e32 v158, v23, v158                              // 0000000066D4: 0B3D3D17
	v_mul_f32_e32 v159, v23, v159                              // 0000000066D8: 0B3F3F17
	v_mul_f32_dpp v156, v11, v156 row_newbcast:4 row_mask:0xf bank_mask:0xf// 0000000066DC: 0B3938FA FF01540B
	v_mul_f32_dpp v157, v11, v157 row_newbcast:5 row_mask:0xf bank_mask:0xf// 0000000066E4: 0B3B3AFA FF01550B
	v_mul_f32_dpp v158, v11, v158 row_newbcast:6 row_mask:0xf bank_mask:0xf// 0000000066EC: 0B3D3CFA FF01560B
	v_mul_f32_dpp v159, v11, v159 row_newbcast:7 row_mask:0xf bank_mask:0xf// 0000000066F4: 0B3F3EFA FF01570B
	v_mul_f32_e32 v156, v18, v156                              // 0000000066FC: 0B393912
	v_mul_f32_e32 v157, v18, v157                              // 000000006700: 0B3B3B12
	v_mul_f32_e32 v158, v18, v158                              // 000000006704: 0B3D3D12
	v_mul_f32_e32 v159, v18, v159                              // 000000006708: 0B3F3F12
	v_mul_f32_e32 v160, v22, v160                              // 00000000670C: 0B414116
	v_mul_f32_e32 v161, v22, v161                              // 000000006710: 0B434316
	v_mul_f32_e32 v162, v22, v162                              // 000000006714: 0B454516
	v_mul_f32_e32 v163, v22, v163                              // 000000006718: 0B474716
	v_mul_f32_dpp v160, v11, v160 row_newbcast:8 row_mask:0xf bank_mask:0xf// 00000000671C: 0B4140FA FF01580B
	v_mul_f32_dpp v161, v11, v161 row_newbcast:9 row_mask:0xf bank_mask:0xf// 000000006724: 0B4342FA FF01590B
	v_mul_f32_dpp v162, v11, v162 row_newbcast:10 row_mask:0xf bank_mask:0xf// 00000000672C: 0B4544FA FF015A0B
	v_mul_f32_dpp v163, v11, v163 row_newbcast:11 row_mask:0xf bank_mask:0xf// 000000006734: 0B4746FA FF015B0B
	v_mul_f32_e32 v160, v17, v160                              // 00000000673C: 0B414111
	v_mul_f32_e32 v161, v17, v161                              // 000000006740: 0B434311
	v_mul_f32_e32 v162, v17, v162                              // 000000006744: 0B454511
	v_mul_f32_e32 v163, v17, v163                              // 000000006748: 0B474711
	v_mul_f32_e32 v164, v23, v164                              // 00000000674C: 0B494917
	v_mul_f32_e32 v165, v23, v165                              // 000000006750: 0B4B4B17
	v_mul_f32_e32 v166, v23, v166                              // 000000006754: 0B4D4D17
	v_mul_f32_e32 v167, v23, v167                              // 000000006758: 0B4F4F17
	v_mul_f32_dpp v164, v11, v164 row_newbcast:8 row_mask:0xf bank_mask:0xf// 00000000675C: 0B4948FA FF01580B
	v_mul_f32_dpp v165, v11, v165 row_newbcast:9 row_mask:0xf bank_mask:0xf// 000000006764: 0B4B4AFA FF01590B
	v_mul_f32_dpp v166, v11, v166 row_newbcast:10 row_mask:0xf bank_mask:0xf// 00000000676C: 0B4D4CFA FF015A0B
	v_mul_f32_dpp v167, v11, v167 row_newbcast:11 row_mask:0xf bank_mask:0xf// 000000006774: 0B4F4EFA FF015B0B
	v_mul_f32_e32 v164, v18, v164                              // 00000000677C: 0B494912
	v_mul_f32_e32 v165, v18, v165                              // 000000006780: 0B4B4B12
	v_mul_f32_e32 v166, v18, v166                              // 000000006784: 0B4D4D12
	v_mul_f32_e32 v167, v18, v167                              // 000000006788: 0B4F4F12
	v_mul_f32_e32 v168, v22, v168                              // 00000000678C: 0B515116
	v_mul_f32_e32 v169, v22, v169                              // 000000006790: 0B535316
	v_mul_f32_e32 v170, v22, v170                              // 000000006794: 0B555516
	v_mul_f32_e32 v171, v22, v171                              // 000000006798: 0B575716
	v_mul_f32_dpp v168, v11, v168 row_newbcast:12 row_mask:0xf bank_mask:0xf// 00000000679C: 0B5150FA FF015C0B
	v_mul_f32_dpp v169, v11, v169 row_newbcast:13 row_mask:0xf bank_mask:0xf// 0000000067A4: 0B5352FA FF015D0B
	v_mul_f32_dpp v170, v11, v170 row_newbcast:14 row_mask:0xf bank_mask:0xf// 0000000067AC: 0B5554FA FF015E0B
	v_mul_f32_dpp v171, v11, v171 row_newbcast:15 row_mask:0xf bank_mask:0xf// 0000000067B4: 0B5756FA FF015F0B
	v_mul_f32_e32 v168, v17, v168                              // 0000000067BC: 0B515111
	v_mul_f32_e32 v169, v17, v169                              // 0000000067C0: 0B535311
	v_mul_f32_e32 v170, v17, v170                              // 0000000067C4: 0B555511
	v_mul_f32_e32 v171, v17, v171                              // 0000000067C8: 0B575711
	v_mul_f32_e32 v172, v23, v172                              // 0000000067CC: 0B595917
	v_mul_f32_e32 v173, v23, v173                              // 0000000067D0: 0B5B5B17
	v_mul_f32_e32 v174, v23, v174                              // 0000000067D4: 0B5D5D17
	v_mul_f32_e32 v175, v23, v175                              // 0000000067D8: 0B5F5F17
	v_mul_f32_dpp v172, v11, v172 row_newbcast:12 row_mask:0xf bank_mask:0xf// 0000000067DC: 0B5958FA FF015C0B
	v_mul_f32_dpp v173, v11, v173 row_newbcast:13 row_mask:0xf bank_mask:0xf// 0000000067E4: 0B5B5AFA FF015D0B
	v_mul_f32_dpp v174, v11, v174 row_newbcast:14 row_mask:0xf bank_mask:0xf// 0000000067EC: 0B5D5CFA FF015E0B
	v_mul_f32_dpp v175, v11, v175 row_newbcast:15 row_mask:0xf bank_mask:0xf// 0000000067F4: 0B5F5EFA FF015F0B
	v_mul_f32_e32 v172, v18, v172                              // 0000000067FC: 0B595912
	v_mul_f32_e32 v173, v18, v173                              // 000000006800: 0B5B5B12
	v_mul_f32_e32 v174, v18, v174                              // 000000006804: 0B5D5D12
	v_mul_f32_e32 v175, v18, v175                              // 000000006808: 0B5F5F12
	v_cmp_u_f32_e64 s[48:49], v144, v144                       // 00000000680C: D0480030 00032190
	v_add3_u32 v38, v144, v41, 1                               // 000000006814: D1FF0026 02065390
	v_cndmask_b32_e64 v44, v38, v40, s[48:49]                  // 00000000681C: D100002C 00C25126
	v_cmp_u_f32_e64 s[48:49], v145, v145                       // 000000006824: D0480030 00032391
	v_add3_u32 v38, v145, v41, 1                               // 00000000682C: D1FF0026 02065391
	v_cndmask_b32_e64 v45, v38, v40, s[48:49]                  // 000000006834: D100002D 00C25126
	v_perm_b32 v144, v45, v44, s52                             // 00000000683C: D1ED0090 00D2592D
	v_cmp_u_f32_e64 s[48:49], v146, v146                       // 000000006844: D0480030 00032592
	v_add3_u32 v38, v146, v41, 1                               // 00000000684C: D1FF0026 02065392
	v_cndmask_b32_e64 v44, v38, v40, s[48:49]                  // 000000006854: D100002C 00C25126
	v_cmp_u_f32_e64 s[48:49], v147, v147                       // 00000000685C: D0480030 00032793
	v_add3_u32 v38, v147, v41, 1                               // 000000006864: D1FF0026 02065393
	v_cndmask_b32_e64 v45, v38, v40, s[48:49]                  // 00000000686C: D100002D 00C25126
	v_perm_b32 v145, v45, v44, s52                             // 000000006874: D1ED0091 00D2592D
	v_cmp_u_f32_e64 s[48:49], v148, v148                       // 00000000687C: D0480030 00032994
	v_add3_u32 v38, v148, v41, 1                               // 000000006884: D1FF0026 02065394
	v_cndmask_b32_e64 v44, v38, v40, s[48:49]                  // 00000000688C: D100002C 00C25126
	v_cmp_u_f32_e64 s[48:49], v149, v149                       // 000000006894: D0480030 00032B95
	v_add3_u32 v38, v149, v41, 1                               // 00000000689C: D1FF0026 02065395
	v_cndmask_b32_e64 v45, v38, v40, s[48:49]                  // 0000000068A4: D100002D 00C25126
	v_perm_b32 v146, v45, v44, s52                             // 0000000068AC: D1ED0092 00D2592D
	v_cmp_u_f32_e64 s[48:49], v150, v150                       // 0000000068B4: D0480030 00032D96
	v_add3_u32 v38, v150, v41, 1                               // 0000000068BC: D1FF0026 02065396
	v_cndmask_b32_e64 v44, v38, v40, s[48:49]                  // 0000000068C4: D100002C 00C25126
	v_cmp_u_f32_e64 s[48:49], v151, v151                       // 0000000068CC: D0480030 00032F97
	v_add3_u32 v38, v151, v41, 1                               // 0000000068D4: D1FF0026 02065397
	v_cndmask_b32_e64 v45, v38, v40, s[48:49]                  // 0000000068DC: D100002D 00C25126
	v_perm_b32 v147, v45, v44, s52                             // 0000000068E4: D1ED0093 00D2592D
	v_cmp_u_f32_e64 s[48:49], v152, v152                       // 0000000068EC: D0480030 00033198
	v_add3_u32 v38, v152, v41, 1                               // 0000000068F4: D1FF0026 02065398
	v_cndmask_b32_e64 v44, v38, v40, s[48:49]                  // 0000000068FC: D100002C 00C25126
	v_cmp_u_f32_e64 s[48:49], v153, v153                       // 000000006904: D0480030 00033399
	v_add3_u32 v38, v153, v41, 1                               // 00000000690C: D1FF0026 02065399
	v_cndmask_b32_e64 v45, v38, v40, s[48:49]                  // 000000006914: D100002D 00C25126
	v_perm_b32 v148, v45, v44, s52                             // 00000000691C: D1ED0094 00D2592D
	v_cmp_u_f32_e64 s[48:49], v154, v154                       // 000000006924: D0480030 0003359A
	v_add3_u32 v38, v154, v41, 1                               // 00000000692C: D1FF0026 0206539A
	v_cndmask_b32_e64 v44, v38, v40, s[48:49]                  // 000000006934: D100002C 00C25126
	v_cmp_u_f32_e64 s[48:49], v155, v155                       // 00000000693C: D0480030 0003379B
	v_add3_u32 v38, v155, v41, 1                               // 000000006944: D1FF0026 0206539B
	v_cndmask_b32_e64 v45, v38, v40, s[48:49]                  // 00000000694C: D100002D 00C25126
	v_perm_b32 v149, v45, v44, s52                             // 000000006954: D1ED0095 00D2592D
	v_cmp_u_f32_e64 s[48:49], v156, v156                       // 00000000695C: D0480030 0003399C
	v_add3_u32 v38, v156, v41, 1                               // 000000006964: D1FF0026 0206539C
	v_cndmask_b32_e64 v44, v38, v40, s[48:49]                  // 00000000696C: D100002C 00C25126
	v_cmp_u_f32_e64 s[48:49], v157, v157                       // 000000006974: D0480030 00033B9D
	v_add3_u32 v38, v157, v41, 1                               // 00000000697C: D1FF0026 0206539D
	v_cndmask_b32_e64 v45, v38, v40, s[48:49]                  // 000000006984: D100002D 00C25126
	v_perm_b32 v150, v45, v44, s52                             // 00000000698C: D1ED0096 00D2592D
	v_cmp_u_f32_e64 s[48:49], v158, v158                       // 000000006994: D0480030 00033D9E
	v_add3_u32 v38, v158, v41, 1                               // 00000000699C: D1FF0026 0206539E
	v_cndmask_b32_e64 v44, v38, v40, s[48:49]                  // 0000000069A4: D100002C 00C25126
	v_cmp_u_f32_e64 s[48:49], v159, v159                       // 0000000069AC: D0480030 00033F9F
	v_add3_u32 v38, v159, v41, 1                               // 0000000069B4: D1FF0026 0206539F
	v_cndmask_b32_e64 v45, v38, v40, s[48:49]                  // 0000000069BC: D100002D 00C25126
	v_perm_b32 v151, v45, v44, s52                             // 0000000069C4: D1ED0097 00D2592D
	v_cmp_u_f32_e64 s[48:49], v160, v160                       // 0000000069CC: D0480030 000341A0
	v_add3_u32 v38, v160, v41, 1                               // 0000000069D4: D1FF0026 020653A0
	v_cndmask_b32_e64 v44, v38, v40, s[48:49]                  // 0000000069DC: D100002C 00C25126
	v_cmp_u_f32_e64 s[48:49], v161, v161                       // 0000000069E4: D0480030 000343A1
	v_add3_u32 v38, v161, v41, 1                               // 0000000069EC: D1FF0026 020653A1
	v_cndmask_b32_e64 v45, v38, v40, s[48:49]                  // 0000000069F4: D100002D 00C25126
	v_perm_b32 v152, v45, v44, s52                             // 0000000069FC: D1ED0098 00D2592D
	v_cmp_u_f32_e64 s[48:49], v162, v162                       // 000000006A04: D0480030 000345A2
	v_add3_u32 v38, v162, v41, 1                               // 000000006A0C: D1FF0026 020653A2
	v_cndmask_b32_e64 v44, v38, v40, s[48:49]                  // 000000006A14: D100002C 00C25126
	v_cmp_u_f32_e64 s[48:49], v163, v163                       // 000000006A1C: D0480030 000347A3
	v_add3_u32 v38, v163, v41, 1                               // 000000006A24: D1FF0026 020653A3
	v_cndmask_b32_e64 v45, v38, v40, s[48:49]                  // 000000006A2C: D100002D 00C25126
	v_perm_b32 v153, v45, v44, s52                             // 000000006A34: D1ED0099 00D2592D
	v_cmp_u_f32_e64 s[48:49], v164, v164                       // 000000006A3C: D0480030 000349A4
	v_add3_u32 v38, v164, v41, 1                               // 000000006A44: D1FF0026 020653A4
	v_cndmask_b32_e64 v44, v38, v40, s[48:49]                  // 000000006A4C: D100002C 00C25126
	v_cmp_u_f32_e64 s[48:49], v165, v165                       // 000000006A54: D0480030 00034BA5
	v_add3_u32 v38, v165, v41, 1                               // 000000006A5C: D1FF0026 020653A5
	v_cndmask_b32_e64 v45, v38, v40, s[48:49]                  // 000000006A64: D100002D 00C25126
	v_perm_b32 v154, v45, v44, s52                             // 000000006A6C: D1ED009A 00D2592D
	v_cmp_u_f32_e64 s[48:49], v166, v166                       // 000000006A74: D0480030 00034DA6
	v_add3_u32 v38, v166, v41, 1                               // 000000006A7C: D1FF0026 020653A6
	v_cndmask_b32_e64 v44, v38, v40, s[48:49]                  // 000000006A84: D100002C 00C25126
	v_cmp_u_f32_e64 s[48:49], v167, v167                       // 000000006A8C: D0480030 00034FA7
	v_add3_u32 v38, v167, v41, 1                               // 000000006A94: D1FF0026 020653A7
	v_cndmask_b32_e64 v45, v38, v40, s[48:49]                  // 000000006A9C: D100002D 00C25126
	v_perm_b32 v155, v45, v44, s52                             // 000000006AA4: D1ED009B 00D2592D
	v_cmp_u_f32_e64 s[48:49], v168, v168                       // 000000006AAC: D0480030 000351A8
	v_add3_u32 v38, v168, v41, 1                               // 000000006AB4: D1FF0026 020653A8
	v_cndmask_b32_e64 v44, v38, v40, s[48:49]                  // 000000006ABC: D100002C 00C25126
	v_cmp_u_f32_e64 s[48:49], v169, v169                       // 000000006AC4: D0480030 000353A9
	v_add3_u32 v38, v169, v41, 1                               // 000000006ACC: D1FF0026 020653A9
	v_cndmask_b32_e64 v45, v38, v40, s[48:49]                  // 000000006AD4: D100002D 00C25126
	v_perm_b32 v156, v45, v44, s52                             // 000000006ADC: D1ED009C 00D2592D
	v_cmp_u_f32_e64 s[48:49], v170, v170                       // 000000006AE4: D0480030 000355AA
	v_add3_u32 v38, v170, v41, 1                               // 000000006AEC: D1FF0026 020653AA
	v_cndmask_b32_e64 v44, v38, v40, s[48:49]                  // 000000006AF4: D100002C 00C25126
	v_cmp_u_f32_e64 s[48:49], v171, v171                       // 000000006AFC: D0480030 000357AB
	v_add3_u32 v38, v171, v41, 1                               // 000000006B04: D1FF0026 020653AB
	v_cndmask_b32_e64 v45, v38, v40, s[48:49]                  // 000000006B0C: D100002D 00C25126
	v_perm_b32 v157, v45, v44, s52                             // 000000006B14: D1ED009D 00D2592D
	v_cmp_u_f32_e64 s[48:49], v172, v172                       // 000000006B1C: D0480030 000359AC
	v_add3_u32 v38, v172, v41, 1                               // 000000006B24: D1FF0026 020653AC
	v_cndmask_b32_e64 v44, v38, v40, s[48:49]                  // 000000006B2C: D100002C 00C25126
	v_cmp_u_f32_e64 s[48:49], v173, v173                       // 000000006B34: D0480030 00035BAD
	v_add3_u32 v38, v173, v41, 1                               // 000000006B3C: D1FF0026 020653AD
	v_cndmask_b32_e64 v45, v38, v40, s[48:49]                  // 000000006B44: D100002D 00C25126
	v_perm_b32 v158, v45, v44, s52                             // 000000006B4C: D1ED009E 00D2592D
	v_cmp_u_f32_e64 s[48:49], v174, v174                       // 000000006B54: D0480030 00035DAE
	v_add3_u32 v38, v174, v41, 1                               // 000000006B5C: D1FF0026 020653AE
	v_cndmask_b32_e64 v44, v38, v40, s[48:49]                  // 000000006B64: D100002C 00C25126
	v_cmp_u_f32_e64 s[48:49], v175, v175                       // 000000006B6C: D0480030 00035FAF
	v_add3_u32 v38, v175, v41, 1                               // 000000006B74: D1FF0026 020653AF
	v_cndmask_b32_e64 v45, v38, v40, s[48:49]                  // 000000006B7C: D100002D 00C25126
	v_perm_b32 v159, v45, v44, s52                             // 000000006B84: D1ED009F 00D2592D
	ds_write_b64 v3, v[144:145] offset:22784                   // 000000006B8C: D89A5900 00009003
	ds_write_b64 v3, v[146:147] offset:31488                   // 000000006B94: D89A7B00 00009203
	ds_write_b64 v3, v[148:149] offset:24960                   // 000000006B9C: D89A6180 00009403
	ds_write_b64 v3, v[150:151] offset:33664                   // 000000006BA4: D89A8380 00009603
	ds_write_b64 v3, v[152:153] offset:27136                   // 000000006BAC: D89A6A00 00009803
	ds_write_b64 v3, v[154:155] offset:35840                   // 000000006BB4: D89A8C00 00009A03
	ds_write_b64 v3, v[156:157] offset:29312                   // 000000006BBC: D89A7280 00009C03
	ds_write_b64 v3, v[158:159] offset:38016                   // 000000006BC4: D89A9480 00009E03
	s_waitcnt lgkmcnt(0)                                       // 000000006BCC: BF8CC07F
	s_barrier                                                  // 000000006BD0: BF8A0000
	ds_read_b32 v64, v4 offset:22784                           // 000000006BD4: D86C5900 40000004
	ds_read_b32 v65, v4 offset:27136                           // 000000006BDC: D86C6A00 41000004
	ds_read_b32 v66, v4 offset:22816                           // 000000006BE4: D86C5920 42000004
	ds_read_b32 v67, v4 offset:27168                           // 000000006BEC: D86C6A20 43000004
	ds_read_b32 v68, v4 offset:22848                           // 000000006BF4: D86C5940 44000004
	ds_read_b32 v69, v4 offset:27200                           // 000000006BFC: D86C6A40 45000004
	ds_read_b32 v70, v4 offset:22880                           // 000000006C04: D86C5960 46000004
	ds_read_b32 v71, v4 offset:27232                           // 000000006C0C: D86C6A60 47000004
	ds_read_b32 v72, v4 offset:31488                           // 000000006C14: D86C7B00 48000004
	ds_read_b32 v73, v4 offset:35840                           // 000000006C1C: D86C8C00 49000004
	ds_read_b32 v74, v4 offset:31520                           // 000000006C24: D86C7B20 4A000004
	ds_read_b32 v75, v4 offset:35872                           // 000000006C2C: D86C8C20 4B000004
	ds_read_b32 v76, v4 offset:31552                           // 000000006C34: D86C7B40 4C000004
	ds_read_b32 v77, v4 offset:35904                           // 000000006C3C: D86C8C40 4D000004
	ds_read_b32 v78, v4 offset:31584                           // 000000006C44: D86C7B60 4E000004
	ds_read_b32 v79, v4 offset:35936                           // 000000006C4C: D86C8C60 4F000004
	s_waitcnt lgkmcnt(0)                                       // 000000006C54: BF8CC07F
	s_mov_b64 exec, s[20:21]                                   // 000000006C58: BEFE0114
	global_atomic_pk_add_bf16 v80, v64, s[8:9]                 // 000000006C5C: DD488000 00084050
	s_mov_b64 exec, s[36:37]                                   // 000000006C64: BEFE0124
	s_mov_b64 exec, s[20:21]                                   // 000000006C68: BEFE0114
	global_atomic_pk_add_bf16 v80, v65, s[8:9] offset:256      // 000000006C6C: DD488100 00084150
	s_mov_b64 exec, s[36:37]                                   // 000000006C74: BEFE0124
	s_mov_b64 exec, s[22:23]                                   // 000000006C78: BEFE0116
	global_atomic_pk_add_bf16 v82, v66, s[8:9]                 // 000000006C7C: DD488000 00084252
	s_mov_b64 exec, s[36:37]                                   // 000000006C84: BEFE0124
	s_mov_b64 exec, s[22:23]                                   // 000000006C88: BEFE0116
	global_atomic_pk_add_bf16 v82, v67, s[8:9] offset:256      // 000000006C8C: DD488100 00084352
	s_mov_b64 exec, s[36:37]                                   // 000000006C94: BEFE0124
	s_mov_b64 exec, s[24:25]                                   // 000000006C98: BEFE0118
	global_atomic_pk_add_bf16 v84, v68, s[8:9]                 // 000000006C9C: DD488000 00084454
	s_mov_b64 exec, s[36:37]                                   // 000000006CA4: BEFE0124
	s_mov_b64 exec, s[24:25]                                   // 000000006CA8: BEFE0118
	global_atomic_pk_add_bf16 v84, v69, s[8:9] offset:256      // 000000006CAC: DD488100 00084554
	s_mov_b64 exec, s[36:37]                                   // 000000006CB4: BEFE0124
	s_mov_b64 exec, s[26:27]                                   // 000000006CB8: BEFE011A
	global_atomic_pk_add_bf16 v86, v70, s[8:9]                 // 000000006CBC: DD488000 00084656
	s_mov_b64 exec, s[36:37]                                   // 000000006CC4: BEFE0124
	s_mov_b64 exec, s[26:27]                                   // 000000006CC8: BEFE011A
	global_atomic_pk_add_bf16 v86, v71, s[8:9] offset:256      // 000000006CCC: DD488100 00084756
	s_mov_b64 exec, s[36:37]                                   // 000000006CD4: BEFE0124
	s_mov_b64 exec, s[28:29]                                   // 000000006CD8: BEFE011C
	global_atomic_pk_add_bf16 v88, v72, s[8:9]                 // 000000006CDC: DD488000 00084858
	s_mov_b64 exec, s[36:37]                                   // 000000006CE4: BEFE0124
	s_mov_b64 exec, s[28:29]                                   // 000000006CE8: BEFE011C
	global_atomic_pk_add_bf16 v88, v73, s[8:9] offset:256      // 000000006CEC: DD488100 00084958
	s_mov_b64 exec, s[36:37]                                   // 000000006CF4: BEFE0124
	s_mov_b64 exec, s[30:31]                                   // 000000006CF8: BEFE011E
	global_atomic_pk_add_bf16 v90, v74, s[8:9]                 // 000000006CFC: DD488000 00084A5A
	s_mov_b64 exec, s[36:37]                                   // 000000006D04: BEFE0124
	s_mov_b64 exec, s[30:31]                                   // 000000006D08: BEFE011E
	global_atomic_pk_add_bf16 v90, v75, s[8:9] offset:256      // 000000006D0C: DD488100 00084B5A
	s_mov_b64 exec, s[36:37]                                   // 000000006D14: BEFE0124
	s_mov_b64 exec, s[32:33]                                   // 000000006D18: BEFE0120
	global_atomic_pk_add_bf16 v92, v76, s[8:9]                 // 000000006D1C: DD488000 00084C5C
	s_mov_b64 exec, s[36:37]                                   // 000000006D24: BEFE0124
	s_mov_b64 exec, s[32:33]                                   // 000000006D28: BEFE0120
	global_atomic_pk_add_bf16 v92, v77, s[8:9] offset:256      // 000000006D2C: DD488100 00084D5C
	s_mov_b64 exec, s[36:37]                                   // 000000006D34: BEFE0124
	s_mov_b64 exec, s[34:35]                                   // 000000006D38: BEFE0122
	global_atomic_pk_add_bf16 v94, v78, s[8:9]                 // 000000006D3C: DD488000 00084E5E
	s_mov_b64 exec, s[36:37]                                   // 000000006D44: BEFE0124
	s_mov_b64 exec, s[34:35]                                   // 000000006D48: BEFE0122
	global_atomic_pk_add_bf16 v94, v79, s[8:9] offset:256      // 000000006D4C: DD488100 00084F5E
	s_mov_b64 exec, s[36:37]                                   // 000000006D54: BEFE0124
	s_add_u32 s8, s59, s8                                      // 000000006D58: 8008083B
	s_addc_u32 s9, 0, s9                                       // 000000006D5C: 82090980
	s_addk_i32 s80, 0x100                                      // 000000006D60: B7500100
	s_cmp_lt_i32 s80, s81                                      // 000000006D64: BF045150
	s_cbranch_scc0 label_0A72                                  // 000000006D68: BF84F9D7
	s_waitcnt vmcnt(21)                                        // 000000006D6C: BF8C4F75
	s_barrier                                                  // 000000006D70: BF8A0000
	v_mfma_f32_16x16x32_fp8_fp8 v[176:179], a[32:33], v[128:129], 0// 000000006D74: D3F300B0 0A030120
	buffer_load_dwordx4 a[0:3], v34, s[12:15], 0 offen         // 000000006D7C: E05C1000 80830022
	v_mfma_f32_16x16x32_fp8_fp8 v[176:179], a[34:35], v[130:131], v[176:179]// 000000006D84: D3F300B0 0EC30522
	v_mfma_f32_16x16x32_fp8_fp8 v[180:183], a[32:33], v[136:137], 0// 000000006D8C: D3F300B4 0A031120
	v_mfma_f32_16x16x32_fp8_fp8 v[180:183], a[34:35], v[138:139], v[180:183]// 000000006D94: D3F300B4 0ED31522
	v_mfma_f32_16x16x32_fp8_fp8 v[184:187], a[36:37], v[128:129], 0// 000000006D9C: D3F300B8 0A030124
	buffer_load_dwordx4 a[4:7], v35, s[12:15], 0 offen         // 000000006DA4: E05C1000 80830423
	v_mfma_f32_16x16x32_fp8_fp8 v[184:187], a[38:39], v[130:131], v[184:187]// 000000006DAC: D3F300B8 0EE30526
	v_mfma_f32_16x16x32_fp8_fp8 v[188:191], a[36:37], v[136:137], 0// 000000006DB4: D3F300BC 0A031124
	v_mfma_f32_16x16x32_fp8_fp8 v[188:191], a[38:39], v[138:139], v[188:191]// 000000006DBC: D3F300BC 0EF31526
	v_mfma_f32_16x16x32_fp8_fp8 v[192:195], a[40:41], v[128:129], 0// 000000006DC4: D3F300C0 0A030128
	buffer_load_dwordx4 a[8:11], v36, s[12:15], 0 offen        // 000000006DCC: E05C1000 80830824
	v_mfma_f32_16x16x32_fp8_fp8 v[192:195], a[42:43], v[130:131], v[192:195]// 000000006DD4: D3F300C0 0F03052A
	v_mfma_f32_16x16x32_fp8_fp8 v[196:199], a[40:41], v[136:137], 0// 000000006DDC: D3F300C4 0A031128
	v_mfma_f32_16x16x32_fp8_fp8 v[196:199], a[42:43], v[138:139], v[196:199]// 000000006DE4: D3F300C4 0F13152A
	v_mfma_f32_16x16x32_fp8_fp8 v[200:203], a[44:45], v[128:129], 0// 000000006DEC: D3F300C8 0A03012C
	buffer_load_dwordx4 a[12:15], v37, s[12:15], 0 offen       // 000000006DF4: E05C1000 80830C25
	s_add_u32 s12, s78, s12                                    // 000000006DFC: 800C0C4E
	s_addc_u32 s13, 0, s13                                     // 000000006E00: 820D0D80
	v_mfma_f32_16x16x32_fp8_fp8 v[200:203], a[46:47], v[130:131], v[200:203]// 000000006E04: D3F300C8 0F23052E
	v_mfma_f32_16x16x32_fp8_fp8 v[204:207], a[44:45], v[136:137], 0// 000000006E0C: D3F300CC 0A03112C
	v_mfma_f32_16x16x32_fp8_fp8 v[204:207], a[46:47], v[138:139], v[204:207]// 000000006E14: D3F300CC 0F33152E
	s_waitcnt vmcnt(20)                                        // 000000006E1C: BF8C4F74
	v_mfma_f32_16x16x32_fp8_fp8 v[176:179], a[48:49], v[132:133], v[176:179]// 000000006E20: D3F300B0 0EC30930
	buffer_load_dwordx4 a[16:19], v34, s[12:15], 0 offen       // 000000006E28: E05C1000 80831022
	v_mfma_f32_16x16x32_fp8_fp8 v[176:179], a[50:51], v[134:135], v[176:179]// 000000006E30: D3F300B0 0EC30D32
	v_mfma_f32_16x16x32_fp8_fp8 v[180:183], a[48:49], v[140:141], v[180:183]// 000000006E38: D3F300B4 0ED31930
	buffer_load_dword v11, v5, s[16:19], 0 offen               // 000000006E40: E0501000 80040B05
	v_mfma_f32_16x16x32_fp8_fp8 v[180:183], a[50:51], v[142:143], v[180:183]// 000000006E48: D3F300B4 0ED31D32
	v_mfma_f32_16x16x32_fp8_fp8 v[184:187], a[52:53], v[132:133], v[184:187]// 000000006E50: D3F300B8 0EE30934
	buffer_load_dwordx4 a[20:23], v35, s[12:15], 0 offen       // 000000006E58: E05C1000 80831423
	v_mfma_f32_16x16x32_fp8_fp8 v[184:187], a[54:55], v[134:135], v[184:187]// 000000006E60: D3F300B8 0EE30D36
	v_mfma_f32_16x16x32_fp8_fp8 v[188:191], a[52:53], v[140:141], v[188:191]// 000000006E68: D3F300BC 0EF31934
	v_mfma_f32_16x16x32_fp8_fp8 v[188:191], a[54:55], v[142:143], v[188:191]// 000000006E70: D3F300BC 0EF31D36
	v_mfma_f32_16x16x32_fp8_fp8 v[192:195], a[56:57], v[132:133], v[192:195]// 000000006E78: D3F300C0 0F030938
	buffer_load_dwordx4 a[24:27], v36, s[12:15], 0 offen       // 000000006E80: E05C1000 80831824
	v_mfma_f32_16x16x32_fp8_fp8 v[192:195], a[58:59], v[134:135], v[192:195]// 000000006E88: D3F300C0 0F030D3A
	v_mfma_f32_16x16x32_fp8_fp8 v[196:199], a[56:57], v[140:141], v[196:199]// 000000006E90: D3F300C4 0F131938
	v_mfma_f32_16x16x32_fp8_fp8 v[196:199], a[58:59], v[142:143], v[196:199]// 000000006E98: D3F300C4 0F131D3A
	v_mfma_f32_16x16x32_fp8_fp8 v[200:203], a[60:61], v[132:133], v[200:203]// 000000006EA0: D3F300C8 0F23093C
	buffer_load_dwordx4 a[28:31], v37, s[12:15], 0 offen       // 000000006EA8: E05C1000 80831C25
	v_mfma_f32_16x16x32_fp8_fp8 v[200:203], a[62:63], v[134:135], v[200:203]// 000000006EB0: D3F300C8 0F230D3E
	v_mfma_f32_16x16x32_fp8_fp8 v[204:207], a[60:61], v[140:141], v[204:207]// 000000006EB8: D3F300CC 0F33193C
	v_mfma_f32_16x16x32_fp8_fp8 v[204:207], a[62:63], v[142:143], v[204:207]// 000000006EC0: D3F300CC 0F331D3E
	s_add_u32 s60, 0x200, s80                                  // 000000006EC8: 803C50FF 00000200
	s_cmp_lt_u32 s60, s81                                      // 000000006ED0: BF0A513C
	s_cselect_b32 s56, s56, 0                                  // 000000006ED4: 85388038
	s_cselect_b32 s78, s78, 0                                  // 000000006ED8: 854E804E
	s_cselect_b32 s79, s79, 0                                  // 000000006EDC: 854F804F
	s_add_u32 s12, s56, s12                                    // 000000006EE0: 800C0C38
	s_addc_u32 s13, 0, s13                                     // 000000006EE4: 820D0D80
	s_add_u32 s16, s79, s16                                    // 000000006EE8: 8010104F
	s_addc_u32 s17, 0, s17                                     // 000000006EEC: 82111180
	v_mul_f32_e32 v176, v22, v176                              // 000000006EF0: 0B616116
	v_mul_f32_e32 v177, v22, v177                              // 000000006EF4: 0B636316
	v_mul_f32_e32 v178, v22, v178                              // 000000006EF8: 0B656516
	v_mul_f32_e32 v179, v22, v179                              // 000000006EFC: 0B676716
	v_mul_f32_dpp v176, v12, v176 row_newbcast:0 row_mask:0xf bank_mask:0xf// 000000006F00: 0B6160FA FF01500C
	v_mul_f32_dpp v177, v12, v177 row_newbcast:1 row_mask:0xf bank_mask:0xf// 000000006F08: 0B6362FA FF01510C
	v_mul_f32_dpp v178, v12, v178 row_newbcast:2 row_mask:0xf bank_mask:0xf// 000000006F10: 0B6564FA FF01520C
	v_mul_f32_dpp v179, v12, v179 row_newbcast:3 row_mask:0xf bank_mask:0xf// 000000006F18: 0B6766FA FF01530C
	v_mul_f32_e32 v176, v17, v176                              // 000000006F20: 0B616111
	v_mul_f32_e32 v177, v17, v177                              // 000000006F24: 0B636311
	v_mul_f32_e32 v178, v17, v178                              // 000000006F28: 0B656511
	v_mul_f32_e32 v179, v17, v179                              // 000000006F2C: 0B676711
	v_mul_f32_e32 v180, v23, v180                              // 000000006F30: 0B696917
	v_mul_f32_e32 v181, v23, v181                              // 000000006F34: 0B6B6B17
	v_mul_f32_e32 v182, v23, v182                              // 000000006F38: 0B6D6D17
	v_mul_f32_e32 v183, v23, v183                              // 000000006F3C: 0B6F6F17
	v_mul_f32_dpp v180, v12, v180 row_newbcast:0 row_mask:0xf bank_mask:0xf// 000000006F40: 0B6968FA FF01500C
	v_mul_f32_dpp v181, v12, v181 row_newbcast:1 row_mask:0xf bank_mask:0xf// 000000006F48: 0B6B6AFA FF01510C
	v_mul_f32_dpp v182, v12, v182 row_newbcast:2 row_mask:0xf bank_mask:0xf// 000000006F50: 0B6D6CFA FF01520C
	v_mul_f32_dpp v183, v12, v183 row_newbcast:3 row_mask:0xf bank_mask:0xf// 000000006F58: 0B6F6EFA FF01530C
	v_mul_f32_e32 v180, v18, v180                              // 000000006F60: 0B696912
	v_mul_f32_e32 v181, v18, v181                              // 000000006F64: 0B6B6B12
	v_mul_f32_e32 v182, v18, v182                              // 000000006F68: 0B6D6D12
	v_mul_f32_e32 v183, v18, v183                              // 000000006F6C: 0B6F6F12
	v_mul_f32_e32 v184, v22, v184                              // 000000006F70: 0B717116
	v_mul_f32_e32 v185, v22, v185                              // 000000006F74: 0B737316
	v_mul_f32_e32 v186, v22, v186                              // 000000006F78: 0B757516
	v_mul_f32_e32 v187, v22, v187                              // 000000006F7C: 0B777716
	v_mul_f32_dpp v184, v12, v184 row_newbcast:4 row_mask:0xf bank_mask:0xf// 000000006F80: 0B7170FA FF01540C
	v_mul_f32_dpp v185, v12, v185 row_newbcast:5 row_mask:0xf bank_mask:0xf// 000000006F88: 0B7372FA FF01550C
	v_mul_f32_dpp v186, v12, v186 row_newbcast:6 row_mask:0xf bank_mask:0xf// 000000006F90: 0B7574FA FF01560C
	v_mul_f32_dpp v187, v12, v187 row_newbcast:7 row_mask:0xf bank_mask:0xf// 000000006F98: 0B7776FA FF01570C
	v_mul_f32_e32 v184, v17, v184                              // 000000006FA0: 0B717111
	v_mul_f32_e32 v185, v17, v185                              // 000000006FA4: 0B737311
	v_mul_f32_e32 v186, v17, v186                              // 000000006FA8: 0B757511
	v_mul_f32_e32 v187, v17, v187                              // 000000006FAC: 0B777711
	v_mul_f32_e32 v188, v23, v188                              // 000000006FB0: 0B797917
	v_mul_f32_e32 v189, v23, v189                              // 000000006FB4: 0B7B7B17
	v_mul_f32_e32 v190, v23, v190                              // 000000006FB8: 0B7D7D17
	v_mul_f32_e32 v191, v23, v191                              // 000000006FBC: 0B7F7F17
	v_mul_f32_dpp v188, v12, v188 row_newbcast:4 row_mask:0xf bank_mask:0xf// 000000006FC0: 0B7978FA FF01540C
	v_mul_f32_dpp v189, v12, v189 row_newbcast:5 row_mask:0xf bank_mask:0xf// 000000006FC8: 0B7B7AFA FF01550C
	v_mul_f32_dpp v190, v12, v190 row_newbcast:6 row_mask:0xf bank_mask:0xf// 000000006FD0: 0B7D7CFA FF01560C
	v_mul_f32_dpp v191, v12, v191 row_newbcast:7 row_mask:0xf bank_mask:0xf// 000000006FD8: 0B7F7EFA FF01570C
	v_mul_f32_e32 v188, v18, v188                              // 000000006FE0: 0B797912
	v_mul_f32_e32 v189, v18, v189                              // 000000006FE4: 0B7B7B12
	v_mul_f32_e32 v190, v18, v190                              // 000000006FE8: 0B7D7D12
	v_mul_f32_e32 v191, v18, v191                              // 000000006FEC: 0B7F7F12
	v_mul_f32_e32 v192, v22, v192                              // 000000006FF0: 0B818116
	v_mul_f32_e32 v193, v22, v193                              // 000000006FF4: 0B838316
	v_mul_f32_e32 v194, v22, v194                              // 000000006FF8: 0B858516
	v_mul_f32_e32 v195, v22, v195                              // 000000006FFC: 0B878716
	v_mul_f32_dpp v192, v12, v192 row_newbcast:8 row_mask:0xf bank_mask:0xf// 000000007000: 0B8180FA FF01580C
	v_mul_f32_dpp v193, v12, v193 row_newbcast:9 row_mask:0xf bank_mask:0xf// 000000007008: 0B8382FA FF01590C
	v_mul_f32_dpp v194, v12, v194 row_newbcast:10 row_mask:0xf bank_mask:0xf// 000000007010: 0B8584FA FF015A0C
	v_mul_f32_dpp v195, v12, v195 row_newbcast:11 row_mask:0xf bank_mask:0xf// 000000007018: 0B8786FA FF015B0C
	v_mul_f32_e32 v192, v17, v192                              // 000000007020: 0B818111
	v_mul_f32_e32 v193, v17, v193                              // 000000007024: 0B838311
	v_mul_f32_e32 v194, v17, v194                              // 000000007028: 0B858511
	v_mul_f32_e32 v195, v17, v195                              // 00000000702C: 0B878711
	v_mul_f32_e32 v196, v23, v196                              // 000000007030: 0B898917
	v_mul_f32_e32 v197, v23, v197                              // 000000007034: 0B8B8B17
	v_mul_f32_e32 v198, v23, v198                              // 000000007038: 0B8D8D17
	v_mul_f32_e32 v199, v23, v199                              // 00000000703C: 0B8F8F17
	v_mul_f32_dpp v196, v12, v196 row_newbcast:8 row_mask:0xf bank_mask:0xf// 000000007040: 0B8988FA FF01580C
	v_mul_f32_dpp v197, v12, v197 row_newbcast:9 row_mask:0xf bank_mask:0xf// 000000007048: 0B8B8AFA FF01590C
	v_mul_f32_dpp v198, v12, v198 row_newbcast:10 row_mask:0xf bank_mask:0xf// 000000007050: 0B8D8CFA FF015A0C
	v_mul_f32_dpp v199, v12, v199 row_newbcast:11 row_mask:0xf bank_mask:0xf// 000000007058: 0B8F8EFA FF015B0C
	v_mul_f32_e32 v196, v18, v196                              // 000000007060: 0B898912
	v_mul_f32_e32 v197, v18, v197                              // 000000007064: 0B8B8B12
	v_mul_f32_e32 v198, v18, v198                              // 000000007068: 0B8D8D12
	v_mul_f32_e32 v199, v18, v199                              // 00000000706C: 0B8F8F12
	v_mul_f32_e32 v200, v22, v200                              // 000000007070: 0B919116
	v_mul_f32_e32 v201, v22, v201                              // 000000007074: 0B939316
	v_mul_f32_e32 v202, v22, v202                              // 000000007078: 0B959516
	v_mul_f32_e32 v203, v22, v203                              // 00000000707C: 0B979716
	v_mul_f32_dpp v200, v12, v200 row_newbcast:12 row_mask:0xf bank_mask:0xf// 000000007080: 0B9190FA FF015C0C
	v_mul_f32_dpp v201, v12, v201 row_newbcast:13 row_mask:0xf bank_mask:0xf// 000000007088: 0B9392FA FF015D0C
	v_mul_f32_dpp v202, v12, v202 row_newbcast:14 row_mask:0xf bank_mask:0xf// 000000007090: 0B9594FA FF015E0C
	v_mul_f32_dpp v203, v12, v203 row_newbcast:15 row_mask:0xf bank_mask:0xf// 000000007098: 0B9796FA FF015F0C
	v_mul_f32_e32 v200, v17, v200                              // 0000000070A0: 0B919111
	v_mul_f32_e32 v201, v17, v201                              // 0000000070A4: 0B939311
	v_mul_f32_e32 v202, v17, v202                              // 0000000070A8: 0B959511
	v_mul_f32_e32 v203, v17, v203                              // 0000000070AC: 0B979711
	v_mul_f32_e32 v204, v23, v204                              // 0000000070B0: 0B999917
	v_mul_f32_e32 v205, v23, v205                              // 0000000070B4: 0B9B9B17
	v_mul_f32_e32 v206, v23, v206                              // 0000000070B8: 0B9D9D17
	v_mul_f32_e32 v207, v23, v207                              // 0000000070BC: 0B9F9F17
	v_mul_f32_dpp v204, v12, v204 row_newbcast:12 row_mask:0xf bank_mask:0xf// 0000000070C0: 0B9998FA FF015C0C
	v_mul_f32_dpp v205, v12, v205 row_newbcast:13 row_mask:0xf bank_mask:0xf// 0000000070C8: 0B9B9AFA FF015D0C
	v_mul_f32_dpp v206, v12, v206 row_newbcast:14 row_mask:0xf bank_mask:0xf// 0000000070D0: 0B9D9CFA FF015E0C
	v_mul_f32_dpp v207, v12, v207 row_newbcast:15 row_mask:0xf bank_mask:0xf// 0000000070D8: 0B9F9EFA FF015F0C
	v_mul_f32_e32 v204, v18, v204                              // 0000000070E0: 0B999912
	v_mul_f32_e32 v205, v18, v205                              // 0000000070E4: 0B9B9B12
	v_mul_f32_e32 v206, v18, v206                              // 0000000070E8: 0B9D9D12
	v_mul_f32_e32 v207, v18, v207                              // 0000000070EC: 0B9F9F12
	v_cmp_u_f32_e64 s[48:49], v176, v176                       // 0000000070F0: D0480030 000361B0
	v_add3_u32 v38, v176, v41, 1                               // 0000000070F8: D1FF0026 020653B0
	v_cndmask_b32_e64 v44, v38, v40, s[48:49]                  // 000000007100: D100002C 00C25126
	v_cmp_u_f32_e64 s[48:49], v177, v177                       // 000000007108: D0480030 000363B1
	v_add3_u32 v38, v177, v41, 1                               // 000000007110: D1FF0026 020653B1
	v_cndmask_b32_e64 v45, v38, v40, s[48:49]                  // 000000007118: D100002D 00C25126
	v_perm_b32 v176, v45, v44, s52                             // 000000007120: D1ED00B0 00D2592D
	v_cmp_u_f32_e64 s[48:49], v178, v178                       // 000000007128: D0480030 000365B2
	v_add3_u32 v38, v178, v41, 1                               // 000000007130: D1FF0026 020653B2
	v_cndmask_b32_e64 v44, v38, v40, s[48:49]                  // 000000007138: D100002C 00C25126
	v_cmp_u_f32_e64 s[48:49], v179, v179                       // 000000007140: D0480030 000367B3
	v_add3_u32 v38, v179, v41, 1                               // 000000007148: D1FF0026 020653B3
	v_cndmask_b32_e64 v45, v38, v40, s[48:49]                  // 000000007150: D100002D 00C25126
	v_perm_b32 v177, v45, v44, s52                             // 000000007158: D1ED00B1 00D2592D
	v_cmp_u_f32_e64 s[48:49], v180, v180                       // 000000007160: D0480030 000369B4
	v_add3_u32 v38, v180, v41, 1                               // 000000007168: D1FF0026 020653B4
	v_cndmask_b32_e64 v44, v38, v40, s[48:49]                  // 000000007170: D100002C 00C25126
	v_cmp_u_f32_e64 s[48:49], v181, v181                       // 000000007178: D0480030 00036BB5
	v_add3_u32 v38, v181, v41, 1                               // 000000007180: D1FF0026 020653B5
	v_cndmask_b32_e64 v45, v38, v40, s[48:49]                  // 000000007188: D100002D 00C25126
	v_perm_b32 v178, v45, v44, s52                             // 000000007190: D1ED00B2 00D2592D
	v_cmp_u_f32_e64 s[48:49], v182, v182                       // 000000007198: D0480030 00036DB6
	v_add3_u32 v38, v182, v41, 1                               // 0000000071A0: D1FF0026 020653B6
	v_cndmask_b32_e64 v44, v38, v40, s[48:49]                  // 0000000071A8: D100002C 00C25126
	v_cmp_u_f32_e64 s[48:49], v183, v183                       // 0000000071B0: D0480030 00036FB7
	v_add3_u32 v38, v183, v41, 1                               // 0000000071B8: D1FF0026 020653B7
	v_cndmask_b32_e64 v45, v38, v40, s[48:49]                  // 0000000071C0: D100002D 00C25126
	v_perm_b32 v179, v45, v44, s52                             // 0000000071C8: D1ED00B3 00D2592D
	v_cmp_u_f32_e64 s[48:49], v184, v184                       // 0000000071D0: D0480030 000371B8
	v_add3_u32 v38, v184, v41, 1                               // 0000000071D8: D1FF0026 020653B8
	v_cndmask_b32_e64 v44, v38, v40, s[48:49]                  // 0000000071E0: D100002C 00C25126
	v_cmp_u_f32_e64 s[48:49], v185, v185                       // 0000000071E8: D0480030 000373B9
	v_add3_u32 v38, v185, v41, 1                               // 0000000071F0: D1FF0026 020653B9
	v_cndmask_b32_e64 v45, v38, v40, s[48:49]                  // 0000000071F8: D100002D 00C25126
	v_perm_b32 v180, v45, v44, s52                             // 000000007200: D1ED00B4 00D2592D
	v_cmp_u_f32_e64 s[48:49], v186, v186                       // 000000007208: D0480030 000375BA
	v_add3_u32 v38, v186, v41, 1                               // 000000007210: D1FF0026 020653BA
	v_cndmask_b32_e64 v44, v38, v40, s[48:49]                  // 000000007218: D100002C 00C25126
	v_cmp_u_f32_e64 s[48:49], v187, v187                       // 000000007220: D0480030 000377BB
	v_add3_u32 v38, v187, v41, 1                               // 000000007228: D1FF0026 020653BB
	v_cndmask_b32_e64 v45, v38, v40, s[48:49]                  // 000000007230: D100002D 00C25126
	v_perm_b32 v181, v45, v44, s52                             // 000000007238: D1ED00B5 00D2592D
	v_cmp_u_f32_e64 s[48:49], v188, v188                       // 000000007240: D0480030 000379BC
	v_add3_u32 v38, v188, v41, 1                               // 000000007248: D1FF0026 020653BC
	v_cndmask_b32_e64 v44, v38, v40, s[48:49]                  // 000000007250: D100002C 00C25126
	v_cmp_u_f32_e64 s[48:49], v189, v189                       // 000000007258: D0480030 00037BBD
	v_add3_u32 v38, v189, v41, 1                               // 000000007260: D1FF0026 020653BD
	v_cndmask_b32_e64 v45, v38, v40, s[48:49]                  // 000000007268: D100002D 00C25126
	v_perm_b32 v182, v45, v44, s52                             // 000000007270: D1ED00B6 00D2592D
	v_cmp_u_f32_e64 s[48:49], v190, v190                       // 000000007278: D0480030 00037DBE
	v_add3_u32 v38, v190, v41, 1                               // 000000007280: D1FF0026 020653BE
	v_cndmask_b32_e64 v44, v38, v40, s[48:49]                  // 000000007288: D100002C 00C25126
	v_cmp_u_f32_e64 s[48:49], v191, v191                       // 000000007290: D0480030 00037FBF
	v_add3_u32 v38, v191, v41, 1                               // 000000007298: D1FF0026 020653BF
	v_cndmask_b32_e64 v45, v38, v40, s[48:49]                  // 0000000072A0: D100002D 00C25126
	v_perm_b32 v183, v45, v44, s52                             // 0000000072A8: D1ED00B7 00D2592D
	v_cmp_u_f32_e64 s[48:49], v192, v192                       // 0000000072B0: D0480030 000381C0
	v_add3_u32 v38, v192, v41, 1                               // 0000000072B8: D1FF0026 020653C0
	v_cndmask_b32_e64 v44, v38, v40, s[48:49]                  // 0000000072C0: D100002C 00C25126
	v_cmp_u_f32_e64 s[48:49], v193, v193                       // 0000000072C8: D0480030 000383C1
	v_add3_u32 v38, v193, v41, 1                               // 0000000072D0: D1FF0026 020653C1
	v_cndmask_b32_e64 v45, v38, v40, s[48:49]                  // 0000000072D8: D100002D 00C25126
	v_perm_b32 v184, v45, v44, s52                             // 0000000072E0: D1ED00B8 00D2592D
	v_cmp_u_f32_e64 s[48:49], v194, v194                       // 0000000072E8: D0480030 000385C2
	v_add3_u32 v38, v194, v41, 1                               // 0000000072F0: D1FF0026 020653C2
	v_cndmask_b32_e64 v44, v38, v40, s[48:49]                  // 0000000072F8: D100002C 00C25126
	v_cmp_u_f32_e64 s[48:49], v195, v195                       // 000000007300: D0480030 000387C3
	v_add3_u32 v38, v195, v41, 1                               // 000000007308: D1FF0026 020653C3
	v_cndmask_b32_e64 v45, v38, v40, s[48:49]                  // 000000007310: D100002D 00C25126
	v_perm_b32 v185, v45, v44, s52                             // 000000007318: D1ED00B9 00D2592D
	v_cmp_u_f32_e64 s[48:49], v196, v196                       // 000000007320: D0480030 000389C4
	v_add3_u32 v38, v196, v41, 1                               // 000000007328: D1FF0026 020653C4
	v_cndmask_b32_e64 v44, v38, v40, s[48:49]                  // 000000007330: D100002C 00C25126
	v_cmp_u_f32_e64 s[48:49], v197, v197                       // 000000007338: D0480030 00038BC5
	v_add3_u32 v38, v197, v41, 1                               // 000000007340: D1FF0026 020653C5
	v_cndmask_b32_e64 v45, v38, v40, s[48:49]                  // 000000007348: D100002D 00C25126
	v_perm_b32 v186, v45, v44, s52                             // 000000007350: D1ED00BA 00D2592D
	v_cmp_u_f32_e64 s[48:49], v198, v198                       // 000000007358: D0480030 00038DC6
	v_add3_u32 v38, v198, v41, 1                               // 000000007360: D1FF0026 020653C6
	v_cndmask_b32_e64 v44, v38, v40, s[48:49]                  // 000000007368: D100002C 00C25126
	v_cmp_u_f32_e64 s[48:49], v199, v199                       // 000000007370: D0480030 00038FC7
	v_add3_u32 v38, v199, v41, 1                               // 000000007378: D1FF0026 020653C7
	v_cndmask_b32_e64 v45, v38, v40, s[48:49]                  // 000000007380: D100002D 00C25126
	v_perm_b32 v187, v45, v44, s52                             // 000000007388: D1ED00BB 00D2592D
	v_cmp_u_f32_e64 s[48:49], v200, v200                       // 000000007390: D0480030 000391C8
	v_add3_u32 v38, v200, v41, 1                               // 000000007398: D1FF0026 020653C8
	v_cndmask_b32_e64 v44, v38, v40, s[48:49]                  // 0000000073A0: D100002C 00C25126
	v_cmp_u_f32_e64 s[48:49], v201, v201                       // 0000000073A8: D0480030 000393C9
	v_add3_u32 v38, v201, v41, 1                               // 0000000073B0: D1FF0026 020653C9
	v_cndmask_b32_e64 v45, v38, v40, s[48:49]                  // 0000000073B8: D100002D 00C25126
	v_perm_b32 v188, v45, v44, s52                             // 0000000073C0: D1ED00BC 00D2592D
	v_cmp_u_f32_e64 s[48:49], v202, v202                       // 0000000073C8: D0480030 000395CA
	v_add3_u32 v38, v202, v41, 1                               // 0000000073D0: D1FF0026 020653CA
	v_cndmask_b32_e64 v44, v38, v40, s[48:49]                  // 0000000073D8: D100002C 00C25126
	v_cmp_u_f32_e64 s[48:49], v203, v203                       // 0000000073E0: D0480030 000397CB
	v_add3_u32 v38, v203, v41, 1                               // 0000000073E8: D1FF0026 020653CB
	v_cndmask_b32_e64 v45, v38, v40, s[48:49]                  // 0000000073F0: D100002D 00C25126
	v_perm_b32 v189, v45, v44, s52                             // 0000000073F8: D1ED00BD 00D2592D
	v_cmp_u_f32_e64 s[48:49], v204, v204                       // 000000007400: D0480030 000399CC
	v_add3_u32 v38, v204, v41, 1                               // 000000007408: D1FF0026 020653CC
	v_cndmask_b32_e64 v44, v38, v40, s[48:49]                  // 000000007410: D100002C 00C25126
	v_cmp_u_f32_e64 s[48:49], v205, v205                       // 000000007418: D0480030 00039BCD
	v_add3_u32 v38, v205, v41, 1                               // 000000007420: D1FF0026 020653CD
	v_cndmask_b32_e64 v45, v38, v40, s[48:49]                  // 000000007428: D100002D 00C25126
	v_perm_b32 v190, v45, v44, s52                             // 000000007430: D1ED00BE 00D2592D
	v_cmp_u_f32_e64 s[48:49], v206, v206                       // 000000007438: D0480030 00039DCE
	v_add3_u32 v38, v206, v41, 1                               // 000000007440: D1FF0026 020653CE
	v_cndmask_b32_e64 v44, v38, v40, s[48:49]                  // 000000007448: D100002C 00C25126
	v_cmp_u_f32_e64 s[48:49], v207, v207                       // 000000007450: D0480030 00039FCF
	v_add3_u32 v38, v207, v41, 1                               // 000000007458: D1FF0026 020653CF
	v_cndmask_b32_e64 v45, v38, v40, s[48:49]                  // 000000007460: D100002D 00C25126
	v_perm_b32 v191, v45, v44, s52                             // 000000007468: D1ED00BF 00D2592D
	ds_write_b64 v3, v[176:177] offset:22784                   // 000000007470: D89A5900 0000B003
	ds_write_b64 v3, v[178:179] offset:31488                   // 000000007478: D89A7B00 0000B203
	ds_write_b64 v3, v[180:181] offset:24960                   // 000000007480: D89A6180 0000B403
	ds_write_b64 v3, v[182:183] offset:33664                   // 000000007488: D89A8380 0000B603
	ds_write_b64 v3, v[184:185] offset:27136                   // 000000007490: D89A6A00 0000B803
	ds_write_b64 v3, v[186:187] offset:35840                   // 000000007498: D89A8C00 0000BA03
	ds_write_b64 v3, v[188:189] offset:29312                   // 0000000074A0: D89A7280 0000BC03
	ds_write_b64 v3, v[190:191] offset:38016                   // 0000000074A8: D89A9480 0000BE03
	s_waitcnt lgkmcnt(0)                                       // 0000000074B0: BF8CC07F
	s_barrier                                                  // 0000000074B4: BF8A0000
	ds_read_b32 v64, v4 offset:22784                           // 0000000074B8: D86C5900 40000004
	ds_read_b32 v65, v4 offset:27136                           // 0000000074C0: D86C6A00 41000004
	ds_read_b32 v66, v4 offset:22816                           // 0000000074C8: D86C5920 42000004
	ds_read_b32 v67, v4 offset:27168                           // 0000000074D0: D86C6A20 43000004
	ds_read_b32 v68, v4 offset:22848                           // 0000000074D8: D86C5940 44000004
	ds_read_b32 v69, v4 offset:27200                           // 0000000074E0: D86C6A40 45000004
	ds_read_b32 v70, v4 offset:22880                           // 0000000074E8: D86C5960 46000004
	ds_read_b32 v71, v4 offset:27232                           // 0000000074F0: D86C6A60 47000004
	ds_read_b32 v72, v4 offset:31488                           // 0000000074F8: D86C7B00 48000004
	ds_read_b32 v73, v4 offset:35840                           // 000000007500: D86C8C00 49000004
	ds_read_b32 v74, v4 offset:31520                           // 000000007508: D86C7B20 4A000004
	ds_read_b32 v75, v4 offset:35872                           // 000000007510: D86C8C20 4B000004
	ds_read_b32 v76, v4 offset:31552                           // 000000007518: D86C7B40 4C000004
	ds_read_b32 v77, v4 offset:35904                           // 000000007520: D86C8C40 4D000004
	ds_read_b32 v78, v4 offset:31584                           // 000000007528: D86C7B60 4E000004
	ds_read_b32 v79, v4 offset:35936                           // 000000007530: D86C8C60 4F000004
	s_waitcnt lgkmcnt(0)                                       // 000000007538: BF8CC07F
	s_mov_b64 exec, s[20:21]                                   // 00000000753C: BEFE0114
	global_atomic_pk_add_bf16 v80, v64, s[8:9]                 // 000000007540: DD488000 00084050
	s_mov_b64 exec, s[36:37]                                   // 000000007548: BEFE0124
	s_mov_b64 exec, s[20:21]                                   // 00000000754C: BEFE0114
	global_atomic_pk_add_bf16 v80, v65, s[8:9] offset:256      // 000000007550: DD488100 00084150
	s_mov_b64 exec, s[36:37]                                   // 000000007558: BEFE0124
	s_mov_b64 exec, s[22:23]                                   // 00000000755C: BEFE0116
	global_atomic_pk_add_bf16 v82, v66, s[8:9]                 // 000000007560: DD488000 00084252
	s_mov_b64 exec, s[36:37]                                   // 000000007568: BEFE0124
	s_mov_b64 exec, s[22:23]                                   // 00000000756C: BEFE0116
	global_atomic_pk_add_bf16 v82, v67, s[8:9] offset:256      // 000000007570: DD488100 00084352
	s_mov_b64 exec, s[36:37]                                   // 000000007578: BEFE0124
	s_mov_b64 exec, s[24:25]                                   // 00000000757C: BEFE0118
	global_atomic_pk_add_bf16 v84, v68, s[8:9]                 // 000000007580: DD488000 00084454
	s_mov_b64 exec, s[36:37]                                   // 000000007588: BEFE0124
	s_mov_b64 exec, s[24:25]                                   // 00000000758C: BEFE0118
	global_atomic_pk_add_bf16 v84, v69, s[8:9] offset:256      // 000000007590: DD488100 00084554
	s_mov_b64 exec, s[36:37]                                   // 000000007598: BEFE0124
	s_mov_b64 exec, s[26:27]                                   // 00000000759C: BEFE011A
	global_atomic_pk_add_bf16 v86, v70, s[8:9]                 // 0000000075A0: DD488000 00084656
	s_mov_b64 exec, s[36:37]                                   // 0000000075A8: BEFE0124
	s_mov_b64 exec, s[26:27]                                   // 0000000075AC: BEFE011A
	global_atomic_pk_add_bf16 v86, v71, s[8:9] offset:256      // 0000000075B0: DD488100 00084756
	s_mov_b64 exec, s[36:37]                                   // 0000000075B8: BEFE0124
	s_mov_b64 exec, s[28:29]                                   // 0000000075BC: BEFE011C
	global_atomic_pk_add_bf16 v88, v72, s[8:9]                 // 0000000075C0: DD488000 00084858
	s_mov_b64 exec, s[36:37]                                   // 0000000075C8: BEFE0124
	s_mov_b64 exec, s[28:29]                                   // 0000000075CC: BEFE011C
	global_atomic_pk_add_bf16 v88, v73, s[8:9] offset:256      // 0000000075D0: DD488100 00084958
	s_mov_b64 exec, s[36:37]                                   // 0000000075D8: BEFE0124
	s_mov_b64 exec, s[30:31]                                   // 0000000075DC: BEFE011E
	global_atomic_pk_add_bf16 v90, v74, s[8:9]                 // 0000000075E0: DD488000 00084A5A
	s_mov_b64 exec, s[36:37]                                   // 0000000075E8: BEFE0124
	s_mov_b64 exec, s[30:31]                                   // 0000000075EC: BEFE011E
	global_atomic_pk_add_bf16 v90, v75, s[8:9] offset:256      // 0000000075F0: DD488100 00084B5A
	s_mov_b64 exec, s[36:37]                                   // 0000000075F8: BEFE0124
	s_mov_b64 exec, s[32:33]                                   // 0000000075FC: BEFE0120
	global_atomic_pk_add_bf16 v92, v76, s[8:9]                 // 000000007600: DD488000 00084C5C
	s_mov_b64 exec, s[36:37]                                   // 000000007608: BEFE0124
	s_mov_b64 exec, s[32:33]                                   // 00000000760C: BEFE0120
	global_atomic_pk_add_bf16 v92, v77, s[8:9] offset:256      // 000000007610: DD488100 00084D5C
	s_mov_b64 exec, s[36:37]                                   // 000000007618: BEFE0124
	s_mov_b64 exec, s[34:35]                                   // 00000000761C: BEFE0122
	global_atomic_pk_add_bf16 v94, v78, s[8:9]                 // 000000007620: DD488000 00084E5E
	s_mov_b64 exec, s[36:37]                                   // 000000007628: BEFE0124
	s_mov_b64 exec, s[34:35]                                   // 00000000762C: BEFE0122
	global_atomic_pk_add_bf16 v94, v79, s[8:9] offset:256      // 000000007630: DD488100 00084F5E
	s_mov_b64 exec, s[36:37]                                   // 000000007638: BEFE0124
	s_add_u32 s8, s59, s8                                      // 00000000763C: 8008083B
	s_addc_u32 s9, 0, s9                                       // 000000007640: 82090980
	s_addk_i32 s80, 0x100                                      // 000000007644: B7500100
	s_cmp_lt_i32 s80, s81                                      // 000000007648: BF045150
	s_cbranch_scc0 label_0A72                                  // 00000000764C: BF84F79E
	s_branch label_0E62                                        // 000000007650: BF82FB8D

0000000000007654 <label_12D5>:
	s_waitcnt vmcnt(0) expcnt(0) lgkmcnt(0)                    // 000000007654: BF8C0000
	s_endpgm                                                   // 000000007658: BF810000
